;; amdgpu-corpus repo=ROCm/rocFFT kind=compiled arch=gfx1201 opt=O3
	.text
	.amdgcn_target "amdgcn-amd-amdhsa--gfx1201"
	.amdhsa_code_object_version 6
	.protected	fft_rtc_fwd_len1445_factors_17_5_17_wgs_85_tpt_85_halfLds_dp_op_CI_CI_sbrr_dirReg ; -- Begin function fft_rtc_fwd_len1445_factors_17_5_17_wgs_85_tpt_85_halfLds_dp_op_CI_CI_sbrr_dirReg
	.globl	fft_rtc_fwd_len1445_factors_17_5_17_wgs_85_tpt_85_halfLds_dp_op_CI_CI_sbrr_dirReg
	.p2align	8
	.type	fft_rtc_fwd_len1445_factors_17_5_17_wgs_85_tpt_85_halfLds_dp_op_CI_CI_sbrr_dirReg,@function
fft_rtc_fwd_len1445_factors_17_5_17_wgs_85_tpt_85_halfLds_dp_op_CI_CI_sbrr_dirReg: ; @fft_rtc_fwd_len1445_factors_17_5_17_wgs_85_tpt_85_halfLds_dp_op_CI_CI_sbrr_dirReg
; %bb.0:
	s_clause 0x2
	s_load_b128 s[12:15], s[0:1], 0x18
	s_load_b128 s[8:11], s[0:1], 0x0
	;; [unrolled: 1-line block ×3, first 2 shown]
	v_mul_u32_u24_e32 v1, 0x304, v0
	v_mov_b32_e32 v4, 0
	v_mov_b32_e32 v5, 0
	s_wait_kmcnt 0x0
	s_load_b64 s[18:19], s[12:13], 0x0
	s_load_b64 s[16:17], s[14:15], 0x0
	v_lshrrev_b32_e32 v2, 16, v1
	v_mov_b32_e32 v1, 0
	v_cmp_lt_u64_e64 s2, s[10:11], 2
	s_delay_alu instid0(VALU_DEP_2) | instskip(NEXT) | instid1(VALU_DEP_2)
	v_dual_mov_b32 v7, v1 :: v_dual_add_nc_u32 v6, ttmp9, v2
	s_and_b32 vcc_lo, exec_lo, s2
	s_cbranch_vccnz .LBB0_8
; %bb.1:
	s_load_b64 s[2:3], s[0:1], 0x10
	v_mov_b32_e32 v4, 0
	v_mov_b32_e32 v5, 0
	s_add_nc_u64 s[20:21], s[14:15], 8
	s_add_nc_u64 s[22:23], s[12:13], 8
	s_mov_b64 s[24:25], 1
	s_delay_alu instid0(VALU_DEP_1)
	v_dual_mov_b32 v93, v5 :: v_dual_mov_b32 v92, v4
	s_wait_kmcnt 0x0
	s_add_nc_u64 s[26:27], s[2:3], 8
	s_mov_b32 s3, 0
.LBB0_2:                                ; =>This Inner Loop Header: Depth=1
	s_load_b64 s[28:29], s[26:27], 0x0
                                        ; implicit-def: $vgpr94_vgpr95
	s_mov_b32 s2, exec_lo
	s_wait_kmcnt 0x0
	v_or_b32_e32 v2, s29, v7
	s_delay_alu instid0(VALU_DEP_1)
	v_cmpx_ne_u64_e32 0, v[1:2]
	s_wait_alu 0xfffe
	s_xor_b32 s30, exec_lo, s2
	s_cbranch_execz .LBB0_4
; %bb.3:                                ;   in Loop: Header=BB0_2 Depth=1
	s_cvt_f32_u32 s2, s28
	s_cvt_f32_u32 s31, s29
	s_sub_nc_u64 s[36:37], 0, s[28:29]
	s_wait_alu 0xfffe
	s_delay_alu instid0(SALU_CYCLE_1) | instskip(SKIP_1) | instid1(SALU_CYCLE_2)
	s_fmamk_f32 s2, s31, 0x4f800000, s2
	s_wait_alu 0xfffe
	v_s_rcp_f32 s2, s2
	s_delay_alu instid0(TRANS32_DEP_1) | instskip(SKIP_1) | instid1(SALU_CYCLE_2)
	s_mul_f32 s2, s2, 0x5f7ffffc
	s_wait_alu 0xfffe
	s_mul_f32 s31, s2, 0x2f800000
	s_wait_alu 0xfffe
	s_delay_alu instid0(SALU_CYCLE_2) | instskip(SKIP_1) | instid1(SALU_CYCLE_2)
	s_trunc_f32 s31, s31
	s_wait_alu 0xfffe
	s_fmamk_f32 s2, s31, 0xcf800000, s2
	s_cvt_u32_f32 s35, s31
	s_wait_alu 0xfffe
	s_delay_alu instid0(SALU_CYCLE_1) | instskip(SKIP_1) | instid1(SALU_CYCLE_2)
	s_cvt_u32_f32 s34, s2
	s_wait_alu 0xfffe
	s_mul_u64 s[38:39], s[36:37], s[34:35]
	s_wait_alu 0xfffe
	s_mul_hi_u32 s41, s34, s39
	s_mul_i32 s40, s34, s39
	s_mul_hi_u32 s2, s34, s38
	s_mul_i32 s33, s35, s38
	s_wait_alu 0xfffe
	s_add_nc_u64 s[40:41], s[2:3], s[40:41]
	s_mul_hi_u32 s31, s35, s38
	s_mul_hi_u32 s42, s35, s39
	s_add_co_u32 s2, s40, s33
	s_wait_alu 0xfffe
	s_add_co_ci_u32 s2, s41, s31
	s_mul_i32 s38, s35, s39
	s_add_co_ci_u32 s39, s42, 0
	s_wait_alu 0xfffe
	s_add_nc_u64 s[38:39], s[2:3], s[38:39]
	s_wait_alu 0xfffe
	v_add_co_u32 v2, s2, s34, s38
	s_delay_alu instid0(VALU_DEP_1) | instskip(SKIP_1) | instid1(VALU_DEP_1)
	s_cmp_lg_u32 s2, 0
	s_add_co_ci_u32 s35, s35, s39
	v_readfirstlane_b32 s34, v2
	s_wait_alu 0xfffe
	s_delay_alu instid0(VALU_DEP_1)
	s_mul_u64 s[36:37], s[36:37], s[34:35]
	s_wait_alu 0xfffe
	s_mul_hi_u32 s39, s34, s37
	s_mul_i32 s38, s34, s37
	s_mul_hi_u32 s2, s34, s36
	s_mul_i32 s33, s35, s36
	s_wait_alu 0xfffe
	s_add_nc_u64 s[38:39], s[2:3], s[38:39]
	s_mul_hi_u32 s31, s35, s36
	s_mul_hi_u32 s34, s35, s37
	s_wait_alu 0xfffe
	s_add_co_u32 s2, s38, s33
	s_add_co_ci_u32 s2, s39, s31
	s_mul_i32 s36, s35, s37
	s_add_co_ci_u32 s37, s34, 0
	s_wait_alu 0xfffe
	s_add_nc_u64 s[36:37], s[2:3], s[36:37]
	s_wait_alu 0xfffe
	v_add_co_u32 v8, s2, v2, s36
	s_delay_alu instid0(VALU_DEP_1) | instskip(SKIP_1) | instid1(VALU_DEP_1)
	s_cmp_lg_u32 s2, 0
	s_add_co_ci_u32 s2, s35, s37
	v_mul_hi_u32 v12, v6, v8
	s_wait_alu 0xfffe
	v_mad_co_u64_u32 v[2:3], null, v6, s2, 0
	v_mad_co_u64_u32 v[8:9], null, v7, v8, 0
	;; [unrolled: 1-line block ×3, first 2 shown]
	s_delay_alu instid0(VALU_DEP_3) | instskip(SKIP_1) | instid1(VALU_DEP_4)
	v_add_co_u32 v2, vcc_lo, v12, v2
	s_wait_alu 0xfffd
	v_add_co_ci_u32_e32 v3, vcc_lo, 0, v3, vcc_lo
	s_delay_alu instid0(VALU_DEP_2) | instskip(SKIP_1) | instid1(VALU_DEP_2)
	v_add_co_u32 v2, vcc_lo, v2, v8
	s_wait_alu 0xfffd
	v_add_co_ci_u32_e32 v2, vcc_lo, v3, v9, vcc_lo
	s_wait_alu 0xfffd
	v_add_co_ci_u32_e32 v3, vcc_lo, 0, v11, vcc_lo
	s_delay_alu instid0(VALU_DEP_2) | instskip(SKIP_1) | instid1(VALU_DEP_2)
	v_add_co_u32 v8, vcc_lo, v2, v10
	s_wait_alu 0xfffd
	v_add_co_ci_u32_e32 v9, vcc_lo, 0, v3, vcc_lo
	s_delay_alu instid0(VALU_DEP_2) | instskip(SKIP_1) | instid1(VALU_DEP_3)
	v_mul_lo_u32 v10, s29, v8
	v_mad_co_u64_u32 v[2:3], null, s28, v8, 0
	v_mul_lo_u32 v11, s28, v9
	s_delay_alu instid0(VALU_DEP_2) | instskip(NEXT) | instid1(VALU_DEP_2)
	v_sub_co_u32 v2, vcc_lo, v6, v2
	v_add3_u32 v3, v3, v11, v10
	s_delay_alu instid0(VALU_DEP_1) | instskip(SKIP_1) | instid1(VALU_DEP_1)
	v_sub_nc_u32_e32 v10, v7, v3
	s_wait_alu 0xfffd
	v_subrev_co_ci_u32_e64 v10, s2, s29, v10, vcc_lo
	v_add_co_u32 v11, s2, v8, 2
	s_wait_alu 0xf1ff
	v_add_co_ci_u32_e64 v12, s2, 0, v9, s2
	v_sub_co_u32 v13, s2, v2, s28
	v_sub_co_ci_u32_e32 v3, vcc_lo, v7, v3, vcc_lo
	s_wait_alu 0xf1ff
	v_subrev_co_ci_u32_e64 v10, s2, 0, v10, s2
	s_delay_alu instid0(VALU_DEP_3) | instskip(NEXT) | instid1(VALU_DEP_3)
	v_cmp_le_u32_e32 vcc_lo, s28, v13
	v_cmp_eq_u32_e64 s2, s29, v3
	s_wait_alu 0xfffd
	v_cndmask_b32_e64 v13, 0, -1, vcc_lo
	v_cmp_le_u32_e32 vcc_lo, s29, v10
	s_wait_alu 0xfffd
	v_cndmask_b32_e64 v14, 0, -1, vcc_lo
	v_cmp_le_u32_e32 vcc_lo, s28, v2
	;; [unrolled: 3-line block ×3, first 2 shown]
	s_wait_alu 0xfffd
	v_cndmask_b32_e64 v15, 0, -1, vcc_lo
	v_cmp_eq_u32_e32 vcc_lo, s29, v10
	s_wait_alu 0xf1ff
	s_delay_alu instid0(VALU_DEP_2)
	v_cndmask_b32_e64 v2, v15, v2, s2
	s_wait_alu 0xfffd
	v_cndmask_b32_e32 v10, v14, v13, vcc_lo
	v_add_co_u32 v13, vcc_lo, v8, 1
	s_wait_alu 0xfffd
	v_add_co_ci_u32_e32 v14, vcc_lo, 0, v9, vcc_lo
	s_delay_alu instid0(VALU_DEP_3) | instskip(SKIP_1) | instid1(VALU_DEP_2)
	v_cmp_ne_u32_e32 vcc_lo, 0, v10
	s_wait_alu 0xfffd
	v_dual_cndmask_b32 v3, v14, v12 :: v_dual_cndmask_b32 v10, v13, v11
	v_cmp_ne_u32_e32 vcc_lo, 0, v2
	s_wait_alu 0xfffd
	s_delay_alu instid0(VALU_DEP_2)
	v_dual_cndmask_b32 v95, v9, v3 :: v_dual_cndmask_b32 v94, v8, v10
.LBB0_4:                                ;   in Loop: Header=BB0_2 Depth=1
	s_wait_alu 0xfffe
	s_and_not1_saveexec_b32 s2, s30
	s_cbranch_execz .LBB0_6
; %bb.5:                                ;   in Loop: Header=BB0_2 Depth=1
	v_cvt_f32_u32_e32 v2, s28
	s_sub_co_i32 s30, 0, s28
	v_mov_b32_e32 v95, v1
	s_delay_alu instid0(VALU_DEP_2) | instskip(NEXT) | instid1(TRANS32_DEP_1)
	v_rcp_iflag_f32_e32 v2, v2
	v_mul_f32_e32 v2, 0x4f7ffffe, v2
	s_delay_alu instid0(VALU_DEP_1) | instskip(SKIP_1) | instid1(VALU_DEP_1)
	v_cvt_u32_f32_e32 v2, v2
	s_wait_alu 0xfffe
	v_mul_lo_u32 v3, s30, v2
	s_delay_alu instid0(VALU_DEP_1) | instskip(NEXT) | instid1(VALU_DEP_1)
	v_mul_hi_u32 v3, v2, v3
	v_add_nc_u32_e32 v2, v2, v3
	s_delay_alu instid0(VALU_DEP_1) | instskip(NEXT) | instid1(VALU_DEP_1)
	v_mul_hi_u32 v2, v6, v2
	v_mul_lo_u32 v3, v2, s28
	v_add_nc_u32_e32 v8, 1, v2
	s_delay_alu instid0(VALU_DEP_2) | instskip(NEXT) | instid1(VALU_DEP_1)
	v_sub_nc_u32_e32 v3, v6, v3
	v_subrev_nc_u32_e32 v9, s28, v3
	v_cmp_le_u32_e32 vcc_lo, s28, v3
	s_wait_alu 0xfffd
	s_delay_alu instid0(VALU_DEP_2) | instskip(NEXT) | instid1(VALU_DEP_1)
	v_dual_cndmask_b32 v3, v3, v9 :: v_dual_cndmask_b32 v2, v2, v8
	v_cmp_le_u32_e32 vcc_lo, s28, v3
	s_delay_alu instid0(VALU_DEP_2) | instskip(SKIP_1) | instid1(VALU_DEP_1)
	v_add_nc_u32_e32 v8, 1, v2
	s_wait_alu 0xfffd
	v_cndmask_b32_e32 v94, v2, v8, vcc_lo
.LBB0_6:                                ;   in Loop: Header=BB0_2 Depth=1
	s_wait_alu 0xfffe
	s_or_b32 exec_lo, exec_lo, s2
	v_mul_lo_u32 v8, v95, s28
	s_delay_alu instid0(VALU_DEP_2)
	v_mul_lo_u32 v9, v94, s29
	s_load_b64 s[30:31], s[22:23], 0x0
	v_mad_co_u64_u32 v[2:3], null, v94, s28, 0
	s_load_b64 s[28:29], s[20:21], 0x0
	s_add_nc_u64 s[24:25], s[24:25], 1
	s_add_nc_u64 s[20:21], s[20:21], 8
	s_wait_alu 0xfffe
	v_cmp_ge_u64_e64 s2, s[24:25], s[10:11]
	s_add_nc_u64 s[22:23], s[22:23], 8
	s_add_nc_u64 s[26:27], s[26:27], 8
	v_add3_u32 v3, v3, v9, v8
	v_sub_co_u32 v2, vcc_lo, v6, v2
	s_wait_alu 0xfffd
	s_delay_alu instid0(VALU_DEP_2) | instskip(SKIP_2) | instid1(VALU_DEP_1)
	v_sub_co_ci_u32_e32 v3, vcc_lo, v7, v3, vcc_lo
	s_and_b32 vcc_lo, exec_lo, s2
	s_wait_kmcnt 0x0
	v_mul_lo_u32 v6, s30, v3
	v_mul_lo_u32 v7, s31, v2
	v_mad_co_u64_u32 v[4:5], null, s30, v2, v[4:5]
	v_mul_lo_u32 v3, s28, v3
	v_mul_lo_u32 v8, s29, v2
	v_mad_co_u64_u32 v[92:93], null, s28, v2, v[92:93]
	s_delay_alu instid0(VALU_DEP_4) | instskip(NEXT) | instid1(VALU_DEP_2)
	v_add3_u32 v5, v7, v5, v6
	v_add3_u32 v93, v8, v93, v3
	s_wait_alu 0xfffe
	s_cbranch_vccnz .LBB0_9
; %bb.7:                                ;   in Loop: Header=BB0_2 Depth=1
	v_dual_mov_b32 v6, v94 :: v_dual_mov_b32 v7, v95
	s_branch .LBB0_2
.LBB0_8:
	v_dual_mov_b32 v93, v5 :: v_dual_mov_b32 v92, v4
	s_delay_alu instid0(VALU_DEP_2)
	v_dual_mov_b32 v95, v7 :: v_dual_mov_b32 v94, v6
.LBB0_9:
	s_load_b64 s[0:1], s[0:1], 0x28
	v_mul_hi_u32 v1, 0x3030304, v0
	s_lshl_b64 s[10:11], s[10:11], 3
                                        ; implicit-def: $sgpr2
                                        ; implicit-def: $vgpr112
                                        ; implicit-def: $vgpr114
                                        ; implicit-def: $vgpr115
                                        ; implicit-def: $vgpr113
	s_wait_kmcnt 0x0
	v_cmp_gt_u64_e32 vcc_lo, s[0:1], v[94:95]
	v_cmp_le_u64_e64 s0, s[0:1], v[94:95]
	s_delay_alu instid0(VALU_DEP_1)
	s_and_saveexec_b32 s1, s0
	s_wait_alu 0xfffe
	s_xor_b32 s0, exec_lo, s1
; %bb.10:
	v_mul_u32_u24_e32 v1, 0x55, v1
	s_mov_b32 s2, 0
                                        ; implicit-def: $vgpr4_vgpr5
	s_delay_alu instid0(VALU_DEP_1) | instskip(NEXT) | instid1(VALU_DEP_1)
	v_sub_nc_u32_e32 v112, v0, v1
                                        ; implicit-def: $vgpr1
                                        ; implicit-def: $vgpr0
	v_add_nc_u32_e32 v114, 0x55, v112
	v_add_nc_u32_e32 v115, 0xaa, v112
	v_add_nc_u32_e32 v113, 0xff, v112
; %bb.11:
	s_wait_alu 0xfffe
	s_or_saveexec_b32 s1, s0
	v_mov_b32_e32 v196, s2
	s_add_nc_u64 s[2:3], s[14:15], s[10:11]
                                        ; implicit-def: $vgpr6_vgpr7
                                        ; implicit-def: $vgpr10_vgpr11
                                        ; implicit-def: $vgpr14_vgpr15
                                        ; implicit-def: $vgpr18_vgpr19
                                        ; implicit-def: $vgpr26_vgpr27
                                        ; implicit-def: $vgpr30_vgpr31
                                        ; implicit-def: $vgpr42_vgpr43
                                        ; implicit-def: $vgpr22_vgpr23
                                        ; implicit-def: $vgpr34_vgpr35
                                        ; implicit-def: $vgpr38_vgpr39
                                        ; implicit-def: $vgpr54_vgpr55
                                        ; implicit-def: $vgpr50_vgpr51
                                        ; implicit-def: $vgpr58_vgpr59
                                        ; implicit-def: $vgpr62_vgpr63
                                        ; implicit-def: $vgpr66_vgpr67
                                        ; implicit-def: $vgpr46_vgpr47
                                        ; implicit-def: $vgpr2_vgpr3
	s_wait_alu 0xfffe
	s_xor_b32 exec_lo, exec_lo, s1
	s_cbranch_execz .LBB0_13
; %bb.12:
	s_add_nc_u64 s[10:11], s[12:13], s[10:11]
	v_mul_u32_u24_e32 v1, 0x55, v1
	s_load_b64 s[10:11], s[10:11], 0x0
	v_lshlrev_b64_e32 v[4:5], 4, v[4:5]
	s_delay_alu instid0(VALU_DEP_2) | instskip(NEXT) | instid1(VALU_DEP_1)
	v_sub_nc_u32_e32 v112, v0, v1
	v_mad_co_u64_u32 v[0:1], null, s18, v112, 0
	v_add_nc_u32_e32 v113, 0xff, v112
	v_add_nc_u32_e32 v15, 0x154, v112
	;; [unrolled: 1-line block ×5, first 2 shown]
	v_mov_b32_e32 v196, v112
	v_add_nc_u32_e32 v16, 0x1a9, v112
	v_add_nc_u32_e32 v20, 0x2a8, v112
	;; [unrolled: 1-line block ×3, first 2 shown]
	s_wait_kmcnt 0x0
	v_mad_co_u64_u32 v[2:3], null, s10, v94, 0
	v_mul_lo_u32 v12, s11, v94
	v_mul_lo_u32 v13, s10, v95
	s_delay_alu instid0(VALU_DEP_3) | instskip(SKIP_1) | instid1(VALU_DEP_3)
	v_mad_co_u64_u32 v[10:11], null, s19, v112, v[1:2]
	v_add_nc_u32_e32 v114, 0x55, v112
	v_add3_u32 v3, v3, v13, v12
	v_mad_co_u64_u32 v[11:12], null, s18, v113, 0
	v_add_nc_u32_e32 v115, 0xaa, v112
	v_mov_b32_e32 v1, v10
	v_mad_co_u64_u32 v[6:7], null, s18, v114, 0
	s_delay_alu instid0(VALU_DEP_3) | instskip(SKIP_1) | instid1(VALU_DEP_4)
	v_mad_co_u64_u32 v[8:9], null, s18, v115, 0
	v_lshlrev_b64_e32 v[2:3], 4, v[2:3]
	v_lshlrev_b64_e32 v[0:1], 4, v[0:1]
	s_delay_alu instid0(VALU_DEP_3) | instskip(NEXT) | instid1(VALU_DEP_3)
	v_mad_co_u64_u32 v[13:14], null, s19, v114, v[7:8]
	v_add_co_u32 v2, s0, s4, v2
	s_wait_alu 0xf1ff
	s_delay_alu instid0(VALU_DEP_4) | instskip(NEXT) | instid1(VALU_DEP_2)
	v_add_co_ci_u32_e64 v3, s0, s5, v3, s0
	v_add_co_u32 v26, s0, v2, v4
	s_delay_alu instid0(VALU_DEP_4) | instskip(SKIP_1) | instid1(VALU_DEP_3)
	v_mov_b32_e32 v7, v13
	s_wait_alu 0xf1ff
	v_add_co_ci_u32_e64 v27, s0, v3, v5, s0
	s_delay_alu instid0(VALU_DEP_3) | instskip(NEXT) | instid1(VALU_DEP_3)
	v_add_co_u32 v0, s0, v26, v0
	v_lshlrev_b64_e32 v[2:3], 4, v[6:7]
	s_wait_alu 0xf1ff
	s_delay_alu instid0(VALU_DEP_3) | instskip(SKIP_1) | instid1(VALU_DEP_3)
	v_add_co_ci_u32_e64 v1, s0, v27, v1, s0
	v_mad_co_u64_u32 v[6:7], null, s18, v15, 0
	v_add_co_u32 v4, s0, v26, v2
	v_mov_b32_e32 v2, v12
	v_mad_co_u64_u32 v[9:10], null, s19, v115, v[9:10]
	s_wait_alu 0xf1ff
	v_add_co_ci_u32_e64 v5, s0, v27, v3, s0
	s_delay_alu instid0(VALU_DEP_3)
	v_mad_co_u64_u32 v[12:13], null, s19, v113, v[2:3]
	s_clause 0x1
	global_load_b128 v[0:3], v[0:1], off
	global_load_b128 v[44:47], v[4:5], off
	v_lshlrev_b64_e32 v[4:5], 4, v[8:9]
	v_mad_co_u64_u32 v[8:9], null, s18, v16, 0
	v_lshlrev_b64_e32 v[10:11], 4, v[11:12]
	s_delay_alu instid0(VALU_DEP_3) | instskip(SKIP_1) | instid1(VALU_DEP_4)
	v_add_co_u32 v4, s0, v26, v4
	s_wait_alu 0xf1ff
	v_add_co_ci_u32_e64 v5, s0, v27, v5, s0
	s_delay_alu instid0(VALU_DEP_4) | instskip(NEXT) | instid1(VALU_DEP_1)
	v_mad_co_u64_u32 v[13:14], null, s19, v15, v[7:8]
	v_mov_b32_e32 v7, v13
	v_mad_co_u64_u32 v[12:13], null, s19, v16, v[9:10]
	v_mad_co_u64_u32 v[13:14], null, s18, v17, 0
	s_delay_alu instid0(VALU_DEP_3) | instskip(SKIP_3) | instid1(VALU_DEP_4)
	v_lshlrev_b64_e32 v[6:7], 4, v[6:7]
	v_add_co_u32 v10, s0, v26, v10
	s_wait_alu 0xf1ff
	v_add_co_ci_u32_e64 v11, s0, v27, v11, s0
	v_dual_mov_b32 v9, v12 :: v_dual_mov_b32 v12, v14
	s_delay_alu instid0(VALU_DEP_4) | instskip(SKIP_2) | instid1(VALU_DEP_3)
	v_add_co_u32 v6, s0, v26, v6
	s_wait_alu 0xf1ff
	v_add_co_ci_u32_e64 v7, s0, v27, v7, s0
	v_mad_co_u64_u32 v[17:18], null, s19, v17, v[12:13]
	v_add_nc_u32_e32 v19, 0x253, v112
	v_lshlrev_b64_e32 v[8:9], 4, v[8:9]
	s_delay_alu instid0(VALU_DEP_3) | instskip(NEXT) | instid1(VALU_DEP_3)
	v_mov_b32_e32 v14, v17
	v_mad_co_u64_u32 v[15:16], null, s18, v19, 0
	s_delay_alu instid0(VALU_DEP_3) | instskip(SKIP_1) | instid1(VALU_DEP_4)
	v_add_co_u32 v8, s0, v26, v8
	s_wait_alu 0xf1ff
	v_add_co_ci_u32_e64 v9, s0, v27, v9, s0
	s_clause 0x3
	global_load_b128 v[64:67], v[4:5], off
	global_load_b128 v[60:63], v[10:11], off
	;; [unrolled: 1-line block ×4, first 2 shown]
	v_lshlrev_b64_e32 v[4:5], 4, v[13:14]
	v_mov_b32_e32 v12, v16
	s_delay_alu instid0(VALU_DEP_1)
	v_mad_co_u64_u32 v[16:17], null, s19, v19, v[12:13]
	v_mad_co_u64_u32 v[17:18], null, s18, v20, 0
	v_add_nc_u32_e32 v19, 0x2fd, v112
	v_add_co_u32 v4, s0, v26, v4
	s_wait_alu 0xf1ff
	v_add_co_ci_u32_e64 v5, s0, v27, v5, s0
	s_delay_alu instid0(VALU_DEP_3) | instskip(SKIP_3) | instid1(VALU_DEP_3)
	v_mad_co_u64_u32 v[7:8], null, s18, v19, 0
	v_mov_b32_e32 v6, v18
	v_lshlrev_b64_e32 v[9:10], 4, v[15:16]
	v_add_nc_u32_e32 v16, 0x352, v112
	v_mad_co_u64_u32 v[11:12], null, s19, v20, v[6:7]
	v_mov_b32_e32 v6, v8
	s_delay_alu instid0(VALU_DEP_3)
	v_mad_co_u64_u32 v[12:13], null, s18, v16, 0
	v_add_co_u32 v8, s0, v26, v9
	s_wait_alu 0xf1ff
	v_add_co_ci_u32_e64 v9, s0, v27, v10, s0
	v_mov_b32_e32 v18, v11
	v_mad_co_u64_u32 v[10:11], null, s19, v19, v[6:7]
	v_mov_b32_e32 v6, v13
	s_clause 0x1
	global_load_b128 v[52:55], v[4:5], off
	global_load_b128 v[36:39], v[8:9], off
	v_lshlrev_b64_e32 v[4:5], 4, v[17:18]
	v_add_nc_u32_e32 v18, 0x451, v112
	v_mad_co_u64_u32 v[16:17], null, s19, v16, v[6:7]
	v_add_nc_u32_e32 v20, 0x3a7, v112
	v_mov_b32_e32 v8, v10
	v_add_co_u32 v4, s0, v26, v4
	s_wait_alu 0xf1ff
	v_add_co_ci_u32_e64 v5, s0, v27, v5, s0
	v_mov_b32_e32 v13, v16
	v_mad_co_u64_u32 v[14:15], null, s18, v20, 0
	v_lshlrev_b64_e32 v[7:8], 4, v[7:8]
	v_add_nc_u32_e32 v16, 0x3fc, v112
	s_delay_alu instid0(VALU_DEP_3) | instskip(NEXT) | instid1(VALU_DEP_1)
	v_mov_b32_e32 v6, v15
	v_mad_co_u64_u32 v[9:10], null, s19, v20, v[6:7]
	v_lshlrev_b64_e32 v[10:11], 4, v[12:13]
	s_delay_alu instid0(VALU_DEP_4)
	v_mad_co_u64_u32 v[12:13], null, s18, v16, 0
	v_add_co_u32 v6, s0, v26, v7
	s_wait_alu 0xf1ff
	v_add_co_ci_u32_e64 v7, s0, v27, v8, s0
	v_mov_b32_e32 v15, v9
	s_clause 0x1
	global_load_b128 v[32:35], v[4:5], off
	global_load_b128 v[20:23], v[6:7], off
	v_mov_b32_e32 v6, v13
	v_add_co_u32 v4, s0, v26, v10
	v_lshlrev_b64_e32 v[7:8], 4, v[14:15]
	s_wait_alu 0xf1ff
	v_add_co_ci_u32_e64 v5, s0, v27, v11, s0
	v_mad_co_u64_u32 v[14:15], null, s18, v24, 0
	s_delay_alu instid0(VALU_DEP_3) | instskip(SKIP_4) | instid1(VALU_DEP_4)
	v_mad_co_u64_u32 v[9:10], null, s19, v16, v[6:7]
	v_mad_co_u64_u32 v[10:11], null, s18, v18, 0
	v_add_co_u32 v6, s0, v26, v7
	s_wait_alu 0xf1ff
	v_add_co_ci_u32_e64 v7, s0, v27, v8, s0
	v_mov_b32_e32 v13, v9
	s_delay_alu instid0(VALU_DEP_4)
	v_dual_mov_b32 v9, v15 :: v_dual_mov_b32 v8, v11
	v_mad_co_u64_u32 v[16:17], null, s18, v68, 0
	s_clause 0x1
	global_load_b128 v[40:43], v[4:5], off
	global_load_b128 v[28:31], v[6:7], off
	v_lshlrev_b64_e32 v[5:6], 4, v[12:13]
	v_mad_co_u64_u32 v[18:19], null, s19, v18, v[8:9]
	v_mad_co_u64_u32 v[8:9], null, s19, v24, v[9:10]
	;; [unrolled: 1-line block ×3, first 2 shown]
	s_delay_alu instid0(VALU_DEP_3) | instskip(NEXT) | instid1(VALU_DEP_3)
	v_dual_mov_b32 v4, v17 :: v_dual_mov_b32 v11, v18
	v_mov_b32_e32 v15, v8
	s_delay_alu instid0(VALU_DEP_2) | instskip(NEXT) | instid1(VALU_DEP_4)
	v_mad_co_u64_u32 v[7:8], null, s19, v68, v[4:5]
	v_mov_b32_e32 v4, v25
	v_add_co_u32 v5, s0, v26, v5
	v_lshlrev_b64_e32 v[8:9], 4, v[10:11]
	s_wait_alu 0xf1ff
	v_add_co_ci_u32_e64 v6, s0, v27, v6, s0
	s_delay_alu instid0(VALU_DEP_3)
	v_mad_co_u64_u32 v[10:11], null, s19, v69, v[4:5]
	v_lshlrev_b64_e32 v[11:12], 4, v[14:15]
	v_mov_b32_e32 v17, v7
	v_add_co_u32 v7, s0, v26, v8
	s_wait_alu 0xf1ff
	v_add_co_ci_u32_e64 v8, s0, v27, v9, s0
	v_mov_b32_e32 v25, v10
	v_lshlrev_b64_e32 v[13:14], 4, v[16:17]
	v_add_co_u32 v9, s0, v26, v11
	s_wait_alu 0xf1ff
	v_add_co_ci_u32_e64 v10, s0, v27, v12, s0
	v_lshlrev_b64_e32 v[11:12], 4, v[24:25]
	s_delay_alu instid0(VALU_DEP_4) | instskip(SKIP_2) | instid1(VALU_DEP_3)
	v_add_co_u32 v68, s0, v26, v13
	s_wait_alu 0xf1ff
	v_add_co_ci_u32_e64 v69, s0, v27, v14, s0
	v_add_co_u32 v70, s0, v26, v11
	s_wait_alu 0xf1ff
	v_add_co_ci_u32_e64 v71, s0, v27, v12, s0
	s_clause 0x4
	global_load_b128 v[24:27], v[5:6], off
	global_load_b128 v[16:19], v[7:8], off
	;; [unrolled: 1-line block ×5, first 2 shown]
.LBB0_13:
	s_or_b32 exec_lo, exec_lo, s1
	s_wait_loadcnt 0xf
	v_add_f64_e32 v[68:69], v[44:45], v[0:1]
	s_wait_loadcnt 0x0
	v_add_f64_e32 v[70:71], v[4:5], v[44:45]
	s_mov_b32 s4, 0x3259b75e
	s_mov_b32 s10, 0xc61f0d01
	s_mov_b32 s5, 0x3fb79ee6
	s_mov_b32 s11, 0xbfd183b1
	s_mov_b32 s20, 0x910ea3b9
	s_mov_b32 s18, 0x6ed5f1bb
	s_mov_b32 s12, 0x7faef3
	s_mov_b32 s21, 0xbfeb34fa
	s_mov_b32 s19, 0xbfe348c8
	v_add_f64_e64 v[72:73], v[46:47], -v[6:7]
	v_add_f64_e32 v[74:75], v[8:9], v[64:65]
	s_mov_b32 s13, 0xbfef7484
	s_mov_b32 s14, 0x2b2883cd
	;; [unrolled: 1-line block ×16, first 2 shown]
	v_add_f64_e64 v[76:77], v[66:67], -v[10:11]
	s_mov_b32 s59, 0x3fc7851a
	v_add_f64_e32 v[78:79], v[12:13], v[60:61]
	s_mov_b32 s35, 0xbfe9895b
	s_mov_b32 s43, 0xbfc7851a
	;; [unrolled: 1-line block ×6, first 2 shown]
	v_add_f64_e32 v[68:69], v[64:65], v[68:69]
	s_wait_alu 0xfffe
	v_mul_f64_e32 v[106:107], s[4:5], v[70:71]
	v_mul_f64_e32 v[108:109], s[10:11], v[70:71]
	;; [unrolled: 1-line block ×8, first 2 shown]
	s_mov_b32 s29, 0xbfeec746
	s_mov_b32 s30, 0x7c9e640b
	;; [unrolled: 1-line block ×3, first 2 shown]
	v_mul_f64_e32 v[122:123], s[12:13], v[74:75]
	v_mul_f64_e32 v[126:127], s[20:21], v[74:75]
	;; [unrolled: 1-line block ×8, first 2 shown]
	s_mov_b32 s40, 0x5d8e7cdc
	s_mov_b32 s49, 0xbfefdd0d
	;; [unrolled: 1-line block ×9, first 2 shown]
	s_wait_alu 0xfffe
	s_mov_b32 s54, s30
	s_mov_b32 s50, s36
	;; [unrolled: 1-line block ×4, first 2 shown]
	v_add_f64_e64 v[80:81], v[62:63], -v[14:15]
	v_add_f64_e32 v[82:83], v[16:17], v[56:57]
	v_mul_f64_e32 v[132:133], s[10:11], v[78:79]
	v_mul_f64_e32 v[134:135], s[22:23], v[78:79]
	;; [unrolled: 1-line block ×3, first 2 shown]
	v_add_f64_e32 v[68:69], v[60:61], v[68:69]
	v_fma_f64 v[174:175], v[72:73], s[26:27], v[106:107]
	v_fma_f64 v[176:177], v[72:73], s[52:53], v[108:109]
	;; [unrolled: 1-line block ×16, first 2 shown]
	v_mul_f64_e32 v[138:139], s[4:5], v[78:79]
	v_mul_f64_e32 v[190:191], s[20:21], v[78:79]
	;; [unrolled: 1-line block ×5, first 2 shown]
	v_fma_f64 v[197:198], v[76:77], s[58:59], v[122:123]
	v_fma_f64 v[199:200], v[76:77], s[38:39], v[126:127]
	;; [unrolled: 1-line block ×16, first 2 shown]
	v_add_f64_e32 v[68:69], v[56:57], v[68:69]
	v_add_f64_e32 v[126:127], v[0:1], v[174:175]
	;; [unrolled: 1-line block ×17, first 2 shown]
	v_add_f64_e64 v[84:85], v[58:59], -v[18:19]
	v_add_f64_e32 v[86:87], v[24:25], v[48:49]
	v_mul_f64_e32 v[140:141], s[24:25], v[82:83]
	v_mul_f64_e32 v[142:143], s[14:15], v[82:83]
	v_fma_f64 v[217:218], v[80:81], s[28:29], v[132:133]
	v_fma_f64 v[219:220], v[80:81], s[50:51], v[134:135]
	;; [unrolled: 1-line block ×16, first 2 shown]
	v_mul_f64_e32 v[144:145], s[20:21], v[82:83]
	v_add_f64_e32 v[68:69], v[48:49], v[68:69]
	v_add_f64_e32 v[126:127], v[197:198], v[126:127]
	;; [unrolled: 1-line block ×3, first 2 shown]
	v_mul_f64_e32 v[146:147], s[18:19], v[82:83]
	v_mul_f64_e32 v[188:189], s[22:23], v[82:83]
	;; [unrolled: 1-line block ×5, first 2 shown]
	v_add_f64_e32 v[174:175], v[201:202], v[176:177]
	v_add_f64_e32 v[176:177], v[203:204], v[178:179]
	;; [unrolled: 1-line block ×14, first 2 shown]
	v_add_f64_e64 v[88:89], v[50:51], -v[26:27]
	v_add_f64_e32 v[90:91], v[28:29], v[52:53]
	v_mul_f64_e32 v[148:149], s[14:15], v[86:87]
	v_mul_f64_e32 v[150:151], s[12:13], v[86:87]
	v_fma_f64 v[178:179], v[84:85], s[46:47], v[140:141]
	v_fma_f64 v[180:181], v[84:85], s[30:31], v[142:143]
	v_mul_f64_e32 v[152:153], s[4:5], v[86:87]
	v_mul_f64_e32 v[154:155], s[24:25], v[86:87]
	;; [unrolled: 1-line block ×6, first 2 shown]
	v_fma_f64 v[140:141], v[84:85], s[40:41], v[140:141]
	v_add_f64_e64 v[96:97], v[54:55], -v[30:31]
	v_add_f64_e32 v[98:99], v[40:41], v[36:37]
	v_fma_f64 v[182:183], v[84:85], s[56:57], v[144:145]
	v_add_f64_e32 v[68:69], v[52:53], v[68:69]
	v_add_f64_e32 v[126:127], v[217:218], v[126:127]
	v_add_f64_e32 v[134:135], v[219:220], v[134:135]
	v_fma_f64 v[184:185], v[84:85], s[34:35], v[146:147]
	v_fma_f64 v[144:145], v[84:85], s[38:39], v[144:145]
	;; [unrolled: 1-line block ×12, first 2 shown]
	v_add_f64_e32 v[142:143], v[221:222], v[174:175]
	v_add_f64_e32 v[174:175], v[223:224], v[176:177]
	;; [unrolled: 1-line block ×14, first 2 shown]
	v_mul_f64_e32 v[158:159], s[20:21], v[90:91]
	v_mul_f64_e32 v[162:163], s[4:5], v[90:91]
	v_fma_f64 v[156:157], v[88:89], s[30:31], v[148:149]
	v_fma_f64 v[176:177], v[88:89], s[58:59], v[150:151]
	v_mul_f64_e32 v[166:167], s[22:23], v[90:91]
	v_mul_f64_e32 v[168:169], s[12:13], v[90:91]
	v_fma_f64 v[190:191], v[88:89], s[48:49], v[152:153]
	v_fma_f64 v[192:193], v[88:89], s[40:41], v[154:155]
	;; [unrolled: 1-line block ×3, first 2 shown]
	v_add_f64_e32 v[68:69], v[36:37], v[68:69]
	v_add_f64_e32 v[126:127], v[178:179], v[126:127]
	;; [unrolled: 1-line block ×3, first 2 shown]
	v_fma_f64 v[154:155], v[88:89], s[46:47], v[154:155]
	v_fma_f64 v[194:195], v[88:89], s[44:45], v[124:125]
	;; [unrolled: 1-line block ×11, first 2 shown]
	v_mul_f64_e32 v[108:109], s[14:15], v[90:91]
	v_add_f64_e32 v[142:143], v[182:183], v[142:143]
	v_add_f64_e32 v[150:151], v[184:185], v[174:175]
	;; [unrolled: 1-line block ×6, first 2 shown]
	v_mul_f64_e32 v[132:133], s[18:19], v[90:91]
	v_mul_f64_e32 v[138:139], s[10:11], v[90:91]
	;; [unrolled: 1-line block ×3, first 2 shown]
	v_add_f64_e32 v[106:107], v[140:141], v[106:107]
	v_add_f64_e32 v[76:77], v[84:85], v[76:77]
	;; [unrolled: 1-line block ×8, first 2 shown]
	v_add_f64_e64 v[100:101], v[38:39], -v[42:43]
	v_add_f64_e32 v[102:103], v[20:21], v[32:33]
	v_mul_f64_e32 v[170:171], s[18:19], v[98:99]
	v_mul_f64_e32 v[172:173], s[24:25], v[98:99]
	v_fma_f64 v[146:147], v[96:97], s[56:57], v[158:159]
	v_fma_f64 v[174:175], v[96:97], s[48:49], v[162:163]
	v_add_f64_e32 v[68:69], v[32:33], v[68:69]
	v_add_f64_e32 v[126:127], v[156:157], v[126:127]
	;; [unrolled: 1-line block ×3, first 2 shown]
	v_mul_f64_e32 v[72:73], s[12:13], v[98:99]
	v_mul_f64_e32 v[70:71], s[22:23], v[98:99]
	v_fma_f64 v[178:179], v[96:97], s[36:37], v[166:167]
	v_fma_f64 v[180:181], v[96:97], s[58:59], v[168:169]
	v_mul_f64_e32 v[84:85], s[10:11], v[98:99]
	v_fma_f64 v[166:167], v[96:97], s[50:51], v[166:167]
	v_fma_f64 v[168:169], v[96:97], s[42:43], v[168:169]
	v_mul_f64_e32 v[140:141], s[20:21], v[98:99]
	v_mul_f64_e32 v[144:145], s[14:15], v[98:99]
	v_mul_f64_e32 v[98:99], s[4:5], v[98:99]
	v_fma_f64 v[158:159], v[96:97], s[38:39], v[158:159]
	v_fma_f64 v[182:183], v[96:97], s[54:55], v[108:109]
	v_add_f64_e32 v[142:143], v[190:191], v[142:143]
	v_add_f64_e32 v[150:151], v[192:193], v[150:151]
	v_fma_f64 v[108:109], v[96:97], s[30:31], v[108:109]
	v_add_f64_e32 v[110:111], v[152:153], v[110:111]
	v_add_f64_e32 v[128:129], v[194:195], v[128:129]
	;; [unrolled: 1-line block ×4, first 2 shown]
	v_fma_f64 v[184:185], v[96:97], s[44:45], v[132:133]
	v_fma_f64 v[132:133], v[96:97], s[34:35], v[132:133]
	;; [unrolled: 1-line block ×7, first 2 shown]
	v_add_f64_e32 v[106:107], v[148:149], v[106:107]
	v_add_f64_e32 v[76:77], v[88:89], v[76:77]
	;; [unrolled: 1-line block ×8, first 2 shown]
	v_add_f64_e64 v[104:105], v[34:35], -v[22:23]
	v_add_f64_e32 v[68:69], v[20:21], v[68:69]
	v_mul_f64_e32 v[122:123], s[22:23], v[102:103]
	v_mul_f64_e32 v[80:81], s[18:19], v[102:103]
	;; [unrolled: 1-line block ×8, first 2 shown]
	v_fma_f64 v[152:153], v[100:101], s[34:35], v[170:171]
	v_fma_f64 v[154:155], v[100:101], s[40:41], v[172:173]
	v_add_f64_e32 v[126:127], v[146:147], v[126:127]
	v_add_f64_e32 v[134:135], v[174:175], v[134:135]
	v_fma_f64 v[156:157], v[100:101], s[58:59], v[72:73]
	v_fma_f64 v[160:161], v[100:101], s[50:51], v[70:71]
	v_add_f64_e32 v[142:143], v[178:179], v[142:143]
	v_add_f64_e32 v[146:147], v[180:181], v[150:151]
	v_fma_f64 v[72:73], v[100:101], s[42:43], v[72:73]
	v_fma_f64 v[162:163], v[100:101], s[52:53], v[84:85]
	;; [unrolled: 1-line block ×3, first 2 shown]
	v_add_f64_e32 v[110:111], v[166:167], v[110:111]
	v_add_f64_e32 v[128:129], v[182:183], v[128:129]
	;; [unrolled: 1-line block ×3, first 2 shown]
	v_fma_f64 v[70:71], v[100:101], s[36:37], v[70:71]
	v_add_f64_e32 v[116:117], v[168:169], v[116:117]
	v_fma_f64 v[164:165], v[100:101], s[56:57], v[140:141]
	v_fma_f64 v[140:141], v[100:101], s[38:39], v[140:141]
	;; [unrolled: 1-line block ×8, first 2 shown]
	v_add_f64_e32 v[106:107], v[158:159], v[106:107]
	v_add_f64_e32 v[76:77], v[96:97], v[76:77]
	;; [unrolled: 1-line block ×9, first 2 shown]
	v_fma_f64 v[90:91], v[104:105], s[50:51], v[122:123]
	v_fma_f64 v[96:97], v[104:105], s[44:45], v[80:81]
	;; [unrolled: 1-line block ×16, first 2 shown]
	v_add_f64_e32 v[104:105], v[152:153], v[126:127]
	v_add_f64_e32 v[126:127], v[154:155], v[134:135]
	v_add_f64_e32 v[134:135], v[156:157], v[142:143]
	v_add_f64_e32 v[142:143], v[160:161], v[146:147]
	v_add_f64_e32 v[72:73], v[72:73], v[110:111]
	v_add_f64_e32 v[110:111], v[162:163], v[128:129]
	v_add_f64_e32 v[84:85], v[84:85], v[108:109]
	v_add_f64_e32 v[70:71], v[70:71], v[116:117]
	s_load_b64 s[2:3], s[2:3], 0x0
	v_cmp_gt_u32_e64 s0, 34, v112
	v_add_f64_e32 v[106:107], v[170:171], v[106:107]
	v_add_f64_e32 v[76:77], v[100:101], v[76:77]
	;; [unrolled: 1-line block ×26, first 2 shown]
	v_mad_u32_u24 v0, 0x88, v112, 0
	v_lshlrev_b32_e32 v1, 7, v112
	v_lshl_add_u32 v116, v114, 3, 0
	v_lshl_add_u32 v117, v115, 3, 0
	s_delay_alu instid0(VALU_DEP_3) | instskip(SKIP_1) | instid1(VALU_DEP_2)
	v_sub_nc_u32_e32 v102, v0, v1
	v_sub_nc_u32_e32 v1, 0, v1
	v_add_nc_u32_e32 v103, 0x800, v102
	v_add_nc_u32_e32 v118, 0xc00, v102
	;; [unrolled: 1-line block ×6, first 2 shown]
	v_add_f64_e32 v[68:69], v[16:17], v[68:69]
	s_delay_alu instid0(VALU_DEP_1) | instskip(NEXT) | instid1(VALU_DEP_1)
	v_add_f64_e32 v[68:69], v[12:13], v[68:69]
	v_add_f64_e32 v[68:69], v[8:9], v[68:69]
	s_delay_alu instid0(VALU_DEP_1)
	v_add_f64_e32 v[68:69], v[4:5], v[68:69]
	ds_store_2addr_b64 v0, v[90:91], v[100:101] offset0:4 offset1:5
	ds_store_2addr_b64 v0, v[104:105], v[120:121] offset0:6 offset1:7
	;; [unrolled: 1-line block ×6, first 2 shown]
	ds_store_b64 v0, v[98:99] offset:128
	ds_store_2addr_b64 v0, v[68:69], v[86:87] offset1:1
	ds_store_2addr_b64 v0, v[78:79], v[80:81] offset0:2 offset1:3
	global_wb scope:SCOPE_SE
	s_wait_dscnt 0x0
	s_wait_kmcnt 0x0
	s_barrier_signal -1
	s_barrier_wait -1
	global_inv scope:SCOPE_SE
	ds_load_b64 v[108:109], v116
	ds_load_b64 v[110:111], v102
	;; [unrolled: 1-line block ×3, first 2 shown]
	ds_load_2addr_b64 v[84:87], v103 offset0:33 offset1:118
	ds_load_2addr_b64 v[68:71], v118 offset0:75 offset1:194
	;; [unrolled: 1-line block ×6, first 2 shown]
	v_lshl_add_u32 v119, v113, 3, 0
	v_add_nc_u32_e32 v118, v0, v1
                                        ; implicit-def: $vgpr100_vgpr101
                                        ; implicit-def: $vgpr102_vgpr103
                                        ; implicit-def: $vgpr104_vgpr105
	s_and_saveexec_b32 s1, s0
	s_cbranch_execz .LBB0_15
; %bb.14:
	ds_load_b64 v[96:97], v119
	ds_load_b64 v[98:99], v118 offset:4352
	ds_load_b64 v[104:105], v118 offset:6664
	;; [unrolled: 1-line block ×4, first 2 shown]
.LBB0_15:
	s_wait_alu 0xfffe
	s_or_b32 exec_lo, exec_lo, s1
	v_add_f64_e32 v[120:121], v[46:47], v[2:3]
	v_add_f64_e64 v[4:5], v[44:45], -v[4:5]
	v_add_f64_e64 v[8:9], v[64:65], -v[8:9]
	;; [unrolled: 1-line block ×4, first 2 shown]
	v_add_f64_e32 v[46:47], v[6:7], v[46:47]
	v_add_f64_e32 v[56:57], v[10:11], v[66:67]
	;; [unrolled: 1-line block ×3, first 2 shown]
	v_add_f64_e64 v[24:25], v[48:49], -v[24:25]
	v_add_f64_e32 v[48:49], v[30:31], v[54:55]
	v_add_f64_e64 v[36:37], v[36:37], -v[40:41]
	v_add_f64_e64 v[20:21], v[32:33], -v[20:21]
	;; [unrolled: 1-line block ×3, first 2 shown]
	v_add_f64_e32 v[52:53], v[42:43], v[38:39]
	v_add_f64_e32 v[64:65], v[22:23], v[34:35]
	global_wb scope:SCOPE_SE
	s_wait_dscnt 0x0
	s_barrier_signal -1
	s_barrier_wait -1
	global_inv scope:SCOPE_SE
	v_add_f64_e32 v[120:121], v[66:67], v[120:121]
	v_mul_f64_e32 v[40:41], s[50:51], v[4:5]
	v_mul_f64_e32 v[66:67], s[28:29], v[4:5]
	;; [unrolled: 1-line block ×32, first 2 shown]
	v_add_f64_e32 v[120:121], v[62:63], v[120:121]
	v_mul_f64_e32 v[62:63], s[48:49], v[4:5]
	v_fma_f64 v[170:171], v[46:47], s[22:23], -v[40:41]
	v_fma_f64 v[174:175], v[46:47], s[10:11], v[66:67]
	v_fma_f64 v[178:179], v[46:47], s[20:21], v[32:33]
	;; [unrolled: 1-line block ×3, first 2 shown]
	v_fma_f64 v[122:123], v[46:47], s[12:13], -v[122:123]
	v_fma_f64 v[32:33], v[46:47], s[20:21], -v[32:33]
	;; [unrolled: 1-line block ×3, first 2 shown]
	v_fma_f64 v[40:41], v[46:47], s[22:23], v[40:41]
	v_fma_f64 v[190:191], v[56:57], s[22:23], v[124:125]
	v_fma_f64 v[124:125], v[56:57], s[22:23], -v[124:125]
	v_fma_f64 v[192:193], v[56:57], s[4:5], v[126:127]
	v_fma_f64 v[126:127], v[56:57], s[4:5], -v[126:127]
	;; [unrolled: 2-line block ×14, first 2 shown]
	v_add_f64_e32 v[120:121], v[58:59], v[120:121]
	v_fma_f64 v[172:173], v[46:47], s[4:5], v[62:63]
	v_fma_f64 v[62:63], v[46:47], s[4:5], -v[62:63]
	v_add_f64_e32 v[58:59], v[18:19], v[58:59]
	v_add_f64_e32 v[122:123], v[2:3], v[122:123]
	;; [unrolled: 1-line block ×11, first 2 shown]
	v_fma_f64 v[192:193], v[58:59], s[22:23], v[16:17]
	v_fma_f64 v[16:17], v[58:59], s[22:23], -v[16:17]
	v_mul_f64_e32 v[132:133], s[42:43], v[28:29]
	v_mul_f64_e32 v[134:135], s[38:39], v[36:37]
	v_add_f64_e32 v[44:45], v[54:55], v[120:121]
	v_mul_f64_e32 v[54:55], s[46:47], v[4:5]
	v_mul_f64_e32 v[120:121], s[34:35], v[4:5]
	;; [unrolled: 1-line block ×3, first 2 shown]
	v_add_f64_e32 v[62:63], v[130:131], v[62:63]
	v_add_f64_e32 v[40:41], v[211:212], v[40:41]
	;; [unrolled: 1-line block ×3, first 2 shown]
	v_mul_f64_e32 v[44:45], s[52:53], v[8:9]
	v_mul_f64_e32 v[8:9], s[40:41], v[8:9]
	v_fma_f64 v[168:169], v[46:47], s[24:25], v[54:55]
	v_fma_f64 v[54:55], v[46:47], s[24:25], -v[54:55]
	v_fma_f64 v[176:177], v[46:47], s[18:19], v[120:121]
	v_fma_f64 v[120:121], v[46:47], s[18:19], -v[120:121]
	v_fma_f64 v[182:183], v[46:47], s[14:15], -v[4:5]
	v_fma_f64 v[4:5], v[46:47], s[14:15], v[4:5]
	v_mul_f64_e32 v[46:47], s[54:55], v[24:25]
	v_add_f64_e32 v[62:63], v[142:143], v[62:63]
	v_fma_f64 v[142:143], v[50:51], s[10:11], v[164:165]
	v_add_f64_e32 v[34:35], v[34:35], v[38:39]
	v_fma_f64 v[201:202], v[56:57], s[10:11], v[44:45]
	v_fma_f64 v[44:45], v[56:57], s[10:11], -v[44:45]
	v_fma_f64 v[205:206], v[56:57], s[24:25], v[8:9]
	v_fma_f64 v[8:9], v[56:57], s[24:25], -v[8:9]
	v_add_f64_e32 v[56:57], v[2:3], v[168:169]
	v_add_f64_e32 v[54:55], v[2:3], v[54:55]
	;; [unrolled: 1-line block ×11, first 2 shown]
	v_mul_f64_e32 v[38:39], s[36:37], v[24:25]
	v_mul_f64_e32 v[182:183], s[46:47], v[28:29]
	v_add_nc_u32_e32 v5, 0x800, v118
	v_add_f64_e32 v[3:4], v[22:23], v[34:35]
	v_mul_f64_e32 v[22:23], s[34:35], v[24:25]
	v_mul_f64_e32 v[24:25], s[34:35], v[28:29]
	;; [unrolled: 1-line block ×3, first 2 shown]
	v_add_f64_e32 v[8:9], v[8:9], v[122:123]
	v_add_f64_e32 v[56:57], v[190:191], v[56:57]
	v_add_f64_e32 v[54:55], v[124:125], v[54:55]
	v_add_f64_e32 v[60:61], v[126:127], v[168:169]
	v_add_f64_e32 v[124:125], v[197:198], v[170:171]
	v_add_f64_e32 v[126:127], v[199:200], v[172:173]
	v_add_f64_e32 v[130:131], v[201:202], v[174:175]
	v_add_f64_e32 v[44:45], v[44:45], v[120:121]
	v_add_f64_e32 v[120:121], v[203:204], v[176:177]
	v_add_f64_e32 v[168:169], v[205:206], v[178:179]
	v_add_f64_e32 v[122:123], v[128:129], v[180:181]
	v_add_f64_e32 v[1:2], v[194:195], v[1:2]
	v_fma_f64 v[170:171], v[58:59], s[4:5], v[150:151]
	v_fma_f64 v[150:151], v[58:59], s[4:5], -v[150:151]
	v_fma_f64 v[172:173], v[58:59], s[12:13], v[152:153]
	v_fma_f64 v[152:153], v[58:59], s[12:13], -v[152:153]
	;; [unrolled: 2-line block ×7, first 2 shown]
	v_mul_f64_e32 v[128:129], s[50:51], v[28:29]
	v_fma_f64 v[194:195], v[50:51], s[4:5], v[186:187]
	v_fma_f64 v[186:187], v[50:51], s[4:5], -v[186:187]
	v_fma_f64 v[197:198], v[50:51], s[24:25], v[188:189]
	v_fma_f64 v[188:189], v[50:51], s[24:25], -v[188:189]
	v_add_f64_e32 v[3:4], v[42:43], v[3:4]
	v_mul_f64_e32 v[42:43], s[26:27], v[28:29]
	v_mul_f64_e32 v[28:29], s[30:31], v[28:29]
	v_fma_f64 v[199:200], v[50:51], s[18:19], v[22:23]
	v_add_f64_e32 v[8:9], v[12:13], v[8:9]
	v_add_f64_e32 v[56:57], v[209:210], v[56:57]
	;; [unrolled: 1-line block ×14, first 2 shown]
	v_fma_f64 v[144:145], v[50:51], s[10:11], -v[164:165]
	v_fma_f64 v[146:147], v[50:51], s[20:21], v[166:167]
	v_fma_f64 v[148:149], v[50:51], s[20:21], -v[166:167]
	v_fma_f64 v[164:165], v[50:51], s[22:23], v[38:39]
	;; [unrolled: 2-line block ×4, first 2 shown]
	v_fma_f64 v[184:185], v[50:51], s[12:13], -v[184:185]
	v_fma_f64 v[22:23], v[50:51], s[18:19], -v[22:23]
	v_add_f64_e32 v[40:41], v[172:173], v[40:41]
	v_mul_f64_e32 v[122:123], s[48:49], v[36:37]
	v_mul_f64_e32 v[136:137], s[44:45], v[36:37]
	;; [unrolled: 1-line block ×4, first 2 shown]
	v_fma_f64 v[172:173], v[48:49], s[22:23], v[128:129]
	v_fma_f64 v[128:129], v[48:49], s[22:23], -v[128:129]
	v_add_f64_e32 v[3:4], v[30:31], v[3:4]
	v_mul_f64_e32 v[30:31], s[30:31], v[36:37]
	v_add_f64_e32 v[8:9], v[16:17], v[8:9]
	v_add_f64_e32 v[50:51], v[170:171], v[56:57]
	;; [unrolled: 1-line block ×15, first 2 shown]
	v_fma_f64 v[152:153], v[48:49], s[18:19], v[24:25]
	v_fma_f64 v[24:25], v[48:49], s[18:19], -v[24:25]
	v_fma_f64 v[154:155], v[48:49], s[10:11], v[34:35]
	v_fma_f64 v[34:35], v[48:49], s[10:11], -v[34:35]
	;; [unrolled: 2-line block ×7, first 2 shown]
	v_mul_f64_e32 v[66:67], s[42:43], v[20:21]
	v_mul_f64_e32 v[130:131], s[40:41], v[20:21]
	;; [unrolled: 1-line block ×3, first 2 shown]
	v_add_f64_e32 v[3:4], v[26:27], v[3:4]
	v_mul_f64_e32 v[26:27], s[36:37], v[36:37]
	v_mul_f64_e32 v[36:37], s[28:29], v[36:37]
	v_add_f64_e32 v[8:9], v[22:23], v[8:9]
	v_add_f64_e32 v[48:49], v[142:143], v[50:51]
	;; [unrolled: 1-line block ×16, first 2 shown]
	v_mul_f64_e32 v[38:39], s[34:35], v[20:21]
	v_fma_f64 v[126:127], v[52:53], s[20:21], v[134:135]
	v_fma_f64 v[134:135], v[52:53], s[20:21], -v[134:135]
	v_fma_f64 v[142:143], v[52:53], s[14:15], v[30:31]
	v_fma_f64 v[30:31], v[52:53], s[14:15], -v[30:31]
	;; [unrolled: 2-line block ×6, first 2 shown]
	v_mul_f64_e32 v[40:41], s[30:31], v[20:21]
	v_mul_f64_e32 v[124:125], s[28:29], v[20:21]
	v_add_f64_e32 v[3:4], v[18:19], v[3:4]
	v_mul_f64_e32 v[18:19], s[36:37], v[20:21]
	v_fma_f64 v[166:167], v[52:53], s[22:23], v[26:27]
	v_fma_f64 v[26:27], v[52:53], s[22:23], -v[26:27]
	v_fma_f64 v[168:169], v[52:53], s[10:11], v[36:37]
	v_fma_f64 v[36:37], v[52:53], s[10:11], -v[36:37]
	v_add_f64_e32 v[48:49], v[152:153], v[48:49]
	v_add_f64_e32 v[24:25], v[24:25], v[50:51]
	;; [unrolled: 1-line block ×7, first 2 shown]
	v_mul_f64_e32 v[20:21], s[26:27], v[20:21]
	v_add_f64_e32 v[44:45], v[128:129], v[44:45]
	v_add_f64_e32 v[58:59], v[176:177], v[120:121]
	;; [unrolled: 1-line block ×9, first 2 shown]
	v_fma_f64 v[32:33], v[64:65], s[12:13], -v[66:67]
	v_fma_f64 v[128:129], v[64:65], s[18:19], v[38:39]
	v_fma_f64 v[42:43], v[64:65], s[24:25], v[130:131]
	v_fma_f64 v[60:61], v[64:65], s[24:25], -v[130:131]
	v_fma_f64 v[62:63], v[64:65], s[20:21], v[150:151]
	v_fma_f64 v[38:39], v[64:65], s[18:19], -v[38:39]
	v_fma_f64 v[130:131], v[64:65], s[14:15], v[40:41]
	v_fma_f64 v[132:133], v[64:65], s[10:11], v[124:125]
	v_fma_f64 v[40:41], v[64:65], s[14:15], -v[40:41]
	v_fma_f64 v[124:125], v[64:65], s[10:11], -v[124:125]
	v_add_f64_e32 v[3:4], v[14:15], v[3:4]
	v_fma_f64 v[14:15], v[64:65], s[12:13], v[66:67]
	v_fma_f64 v[120:121], v[64:65], s[22:23], v[18:19]
	v_fma_f64 v[66:67], v[64:65], s[20:21], -v[150:151]
	v_fma_f64 v[18:19], v[64:65], s[22:23], -v[18:19]
	v_add_f64_e32 v[48:49], v[126:127], v[48:49]
	v_add_f64_e32 v[24:25], v[134:135], v[24:25]
	;; [unrolled: 1-line block ×7, first 2 shown]
	v_fma_f64 v[150:151], v[64:65], s[4:5], v[20:21]
	v_fma_f64 v[20:21], v[64:65], s[4:5], -v[20:21]
	v_add_f64_e32 v[44:45], v[140:141], v[44:45]
	v_add_f64_e32 v[56:57], v[168:169], v[58:59]
	;; [unrolled: 1-line block ×26, first 2 shown]
	v_add_nc_u32_e32 v28, 0x2000, v118
	v_add_nc_u32_e32 v29, 0x1000, v118
	;; [unrolled: 1-line block ×3, first 2 shown]
	v_add_f64_e32 v[3:4], v[6:7], v[3:4]
	v_add_nc_u32_e32 v6, 0xc00, v118
	v_add_nc_u32_e32 v7, 0x1800, v118
	ds_store_2addr_b64 v0, v[14:15], v[24:25] offset0:4 offset1:5
	ds_store_2addr_b64 v0, v[30:31], v[36:37] offset0:6 offset1:7
	;; [unrolled: 1-line block ×6, first 2 shown]
	ds_store_b64 v0, v[32:33] offset:128
	ds_store_2addr_b64 v0, v[22:23], v[1:2] offset0:2 offset1:3
	ds_store_2addr_b64 v0, v[3:4], v[10:11] offset1:1
	global_wb scope:SCOPE_SE
	s_wait_dscnt 0x0
	s_barrier_signal -1
	s_barrier_wait -1
	global_inv scope:SCOPE_SE
	ds_load_2addr_b64 v[16:19], v5 offset0:33 offset1:118
	ds_load_2addr_b64 v[12:15], v6 offset0:75 offset1:194
	;; [unrolled: 1-line block ×4, first 2 shown]
	ds_load_b64 v[24:25], v116
	ds_load_2addr_b64 v[8:11], v29 offset0:151 offset1:236
	ds_load_2addr_b64 v[4:7], v38 offset0:89 offset1:174
	ds_load_b64 v[30:31], v118
	ds_load_b64 v[28:29], v117
                                        ; implicit-def: $vgpr34_vgpr35
                                        ; implicit-def: $vgpr36_vgpr37
                                        ; implicit-def: $vgpr38_vgpr39
	s_and_saveexec_b32 s1, s0
	s_cbranch_execz .LBB0_17
; %bb.16:
	ds_load_b64 v[26:27], v119
	ds_load_b64 v[32:33], v118 offset:4352
	ds_load_b64 v[38:39], v118 offset:6664
	;; [unrolled: 1-line block ×4, first 2 shown]
.LBB0_17:
	s_wait_alu 0xfffe
	s_or_b32 exec_lo, exec_lo, s1
	v_and_b32_e32 v40, 0xff, v112
	v_and_b32_e32 v41, 0xff, v114
	;; [unrolled: 1-line block ×3, first 2 shown]
	s_mov_b32 s4, 0x134454ff
	s_mov_b32 s5, 0x3fee6f0e
	v_mul_lo_u16 v40, 0xf1, v40
	v_mul_lo_u16 v41, 0xf1, v41
	s_mov_b32 s11, 0xbfee6f0e
	s_wait_alu 0xfffe
	s_mov_b32 s10, s4
	s_mov_b32 s12, 0x4755a5e
	v_lshrrev_b16 v188, 12, v40
	v_mul_lo_u16 v40, 0xf1, v42
	v_lshrrev_b16 v189, 12, v41
	s_mov_b32 s13, 0x3fe2cf23
	s_mov_b32 s15, 0xbfe2cf23
	v_mul_lo_u16 v41, v188, 17
	v_lshrrev_b16 v190, 12, v40
	v_mul_lo_u16 v40, v189, 17
	s_wait_alu 0xfffe
	s_mov_b32 s14, s12
	s_mov_b32 s18, 0x372fe950
	v_sub_nc_u16 v41, v112, v41
	v_mul_lo_u16 v42, v190, 17
	v_sub_nc_u16 v40, v114, v40
	s_mov_b32 s19, 0x3fd3c6ef
	s_delay_alu instid0(VALU_DEP_3) | instskip(NEXT) | instid1(VALU_DEP_3)
	v_and_b32_e32 v191, 0xff, v41
	v_sub_nc_u16 v41, v115, v42
	s_delay_alu instid0(VALU_DEP_3) | instskip(NEXT) | instid1(VALU_DEP_3)
	v_and_b32_e32 v115, 0xff, v40
	v_lshlrev_b32_e32 v44, 6, v191
	s_delay_alu instid0(VALU_DEP_3) | instskip(NEXT) | instid1(VALU_DEP_3)
	v_and_b32_e32 v192, 0xff, v41
	v_lshlrev_b32_e32 v45, 6, v115
	s_clause 0x3
	global_load_b128 v[120:123], v44, s[8:9] offset:16
	global_load_b128 v[40:43], v44, s[8:9]
	global_load_b128 v[124:127], v44, s[8:9] offset:48
	global_load_b128 v[128:131], v44, s[8:9] offset:32
	v_lshlrev_b32_e32 v44, 6, v192
	s_clause 0x7
	global_load_b128 v[132:135], v45, s[8:9]
	global_load_b128 v[136:139], v45, s[8:9] offset:16
	global_load_b128 v[140:143], v45, s[8:9] offset:32
	;; [unrolled: 1-line block ×3, first 2 shown]
	global_load_b128 v[148:151], v44, s[8:9]
	global_load_b128 v[152:155], v44, s[8:9] offset:16
	global_load_b128 v[156:159], v44, s[8:9] offset:32
	;; [unrolled: 1-line block ×3, first 2 shown]
	v_and_b32_e32 v44, 0xffff, v113
	s_delay_alu instid0(VALU_DEP_1) | instskip(NEXT) | instid1(VALU_DEP_1)
	v_mul_u32_u24_e32 v44, 0xf0f1, v44
	v_lshrrev_b32_e32 v193, 20, v44
	s_delay_alu instid0(VALU_DEP_1) | instskip(NEXT) | instid1(VALU_DEP_1)
	v_mul_lo_u16 v44, v193, 17
	v_sub_nc_u16 v44, v113, v44
	s_delay_alu instid0(VALU_DEP_1) | instskip(NEXT) | instid1(VALU_DEP_1)
	v_and_b32_e32 v194, 0xffff, v44
	v_lshlrev_b32_e32 v44, 6, v194
	s_clause 0x3
	global_load_b128 v[164:167], v44, s[8:9]
	global_load_b128 v[168:171], v44, s[8:9] offset:16
	global_load_b128 v[172:175], v44, s[8:9] offset:32
	;; [unrolled: 1-line block ×3, first 2 shown]
	global_wb scope:SCOPE_SE
	s_wait_loadcnt_dscnt 0x0
	s_barrier_signal -1
	s_barrier_wait -1
	global_inv scope:SCOPE_SE
	v_mul_f64_e32 v[52:53], v[18:19], v[134:135]
	v_mul_f64_e32 v[60:61], v[8:9], v[138:139]
	;; [unrolled: 1-line block ×24, first 2 shown]
	v_fma_f64 v[42:43], v[80:81], v[136:137], -v[60:61]
	v_fma_f64 v[56:57], v[70:71], v[120:121], -v[46:47]
	;; [unrolled: 1-line block ×12, first 2 shown]
	v_fma_f64 v[40:41], v[16:17], v[40:41], v[186:187]
	v_fma_f64 v[16:17], v[14:15], v[120:121], v[122:123]
	v_fma_f64 v[14:15], v[20:21], v[128:129], v[130:131]
	v_fma_f64 v[2:3], v[2:3], v[124:125], v[126:127]
	v_fma_f64 v[20:21], v[18:19], v[132:133], v[134:135]
	v_fma_f64 v[18:19], v[8:9], v[136:137], v[138:139]
	v_fma_f64 v[8:9], v[22:23], v[140:141], v[142:143]
	v_fma_f64 v[12:13], v[12:13], v[148:149], v[150:151]
	v_fma_f64 v[10:11], v[10:11], v[152:153], v[154:155]
	v_fma_f64 v[6:7], v[6:7], v[160:161], v[162:163]
	v_fma_f64 v[0:1], v[0:1], v[156:157], v[158:159]
	v_fma_f64 v[4:5], v[4:5], v[144:145], v[146:147]
	v_mul_f64_e32 v[150:151], v[32:33], v[166:167]
	v_mul_f64_e32 v[152:153], v[98:99], v[166:167]
	;; [unrolled: 1-line block ×7, first 2 shown]
	v_add_f64_e32 v[76:77], v[110:111], v[54:55]
	v_add_f64_e32 v[66:67], v[54:55], v[64:65]
	;; [unrolled: 1-line block ×7, first 2 shown]
	v_add_f64_e64 v[113:114], v[56:57], -v[54:55]
	v_add_f64_e32 v[72:73], v[44:45], v[52:53]
	v_add_f64_e32 v[74:75], v[50:51], v[62:63]
	v_add_f64_e64 v[120:121], v[58:59], -v[64:65]
	v_add_f64_e64 v[122:123], v[46:47], -v[42:43]
	;; [unrolled: 1-line block ×14, first 2 shown]
	v_fma_f64 v[38:39], v[38:39], v[168:169], v[156:157]
	v_add_f64_e32 v[76:77], v[76:77], v[56:57]
	v_fma_f64 v[66:67], v[66:67], -0.5, v[110:111]
	v_fma_f64 v[22:23], v[22:23], -0.5, v[110:111]
	v_add_f64_e64 v[110:111], v[64:65], -v[58:59]
	v_fma_f64 v[68:69], v[68:69], -0.5, v[108:109]
	v_fma_f64 v[70:71], v[70:71], -0.5, v[108:109]
	v_add_f64_e64 v[108:109], v[10:11], -v[0:1]
	v_add_f64_e32 v[82:83], v[82:83], v[42:43]
	v_fma_f64 v[72:73], v[72:73], -0.5, v[106:107]
	v_fma_f64 v[74:75], v[74:75], -0.5, v[106:107]
	v_add_f64_e64 v[106:107], v[54:55], -v[56:57]
	v_add_f64_e32 v[84:85], v[84:85], v[44:45]
	v_fma_f64 v[140:141], v[80:81], s[10:11], v[66:67]
	v_fma_f64 v[138:139], v[78:79], s[4:5], v[22:23]
	v_fma_f64 v[22:23], v[78:79], s[10:11], v[22:23]
	v_fma_f64 v[66:67], v[80:81], s[4:5], v[66:67]
	v_fma_f64 v[144:145], v[88:89], s[10:11], v[70:71]
	v_fma_f64 v[70:71], v[88:89], s[4:5], v[70:71]
	v_fma_f64 v[142:143], v[86:87], s[4:5], v[68:69]
	v_fma_f64 v[146:147], v[90:91], s[4:5], v[72:73]
	v_fma_f64 v[148:149], v[108:109], s[10:11], v[74:75]
	v_fma_f64 v[74:75], v[108:109], s[4:5], v[74:75]
	v_fma_f64 v[72:73], v[90:91], s[10:11], v[72:73]
	v_fma_f64 v[68:69], v[86:87], s[10:11], v[68:69]
	v_add_f64_e32 v[106:107], v[106:107], v[110:111]
	v_add_f64_e32 v[110:111], v[113:114], v[120:121]
	;; [unrolled: 1-line block ×9, first 2 shown]
	v_fma_f64 v[76:77], v[104:105], v[168:169], -v[154:155]
	v_fma_f64 v[130:131], v[78:79], s[12:13], v[140:141]
	v_fma_f64 v[128:129], v[80:81], s[12:13], v[138:139]
	s_wait_alu 0xfffe
	v_fma_f64 v[22:23], v[80:81], s[14:15], v[22:23]
	v_fma_f64 v[66:67], v[78:79], s[14:15], v[66:67]
	;; [unrolled: 1-line block ×9, first 2 shown]
	v_mul_f64_e32 v[108:109], v[100:101], v[178:179]
	v_fma_f64 v[88:89], v[88:89], s[14:15], v[68:69]
	v_fma_f64 v[72:73], v[98:99], v[164:165], -v[150:151]
	v_fma_f64 v[68:69], v[32:33], v[164:165], v[152:153]
	v_fma_f64 v[80:81], v[102:103], v[172:173], -v[158:159]
	;; [unrolled: 2-line block ×3, first 2 shown]
	v_add_f64_e32 v[98:99], v[126:127], v[64:65]
	v_add_f64_e32 v[100:101], v[82:83], v[60:61]
	;; [unrolled: 1-line block ×3, first 2 shown]
	v_and_b32_e32 v83, 0xffff, v188
	v_and_b32_e32 v84, 0xffff, v189
	;; [unrolled: 1-line block ×3, first 2 shown]
	v_mul_lo_u16 v82, 0x55, v193
	s_delay_alu instid0(VALU_DEP_3)
	v_mul_u32_u24_e32 v84, 0x2a8, v84
	v_fma_f64 v[104:105], v[106:107], s[18:19], v[128:129]
	v_fma_f64 v[22:23], v[106:107], s[18:19], v[22:23]
	;; [unrolled: 1-line block ×13, first 2 shown]
	v_mul_u32_u24_e32 v86, 0x2a8, v83
	v_mul_u32_u24_e32 v87, 0x2a8, v85
	v_lshlrev_b32_e32 v85, 3, v191
	v_lshlrev_b32_e32 v108, 3, v115
	;; [unrolled: 1-line block ×4, first 2 shown]
	s_delay_alu instid0(VALU_DEP_4) | instskip(NEXT) | instid1(VALU_DEP_4)
	v_add3_u32 v85, 0, v86, v85
	v_add3_u32 v86, 0, v84, v108
	s_delay_alu instid0(VALU_DEP_4)
	v_add3_u32 v84, 0, v87, v109
	ds_store_2addr_b64 v85, v[98:99], v[104:105] offset1:17
	ds_store_2addr_b64 v85, v[106:107], v[66:67] offset0:34 offset1:51
	ds_store_b64 v85, v[22:23] offset:544
	ds_store_2addr_b64 v86, v[100:101], v[78:79] offset1:17
	ds_store_2addr_b64 v86, v[110:111], v[70:71] offset0:34 offset1:51
	ds_store_b64 v86, v[88:89] offset:544
	;; [unrolled: 3-line block ×3, first 2 shown]
	s_and_saveexec_b32 s1, s0
	s_cbranch_execz .LBB0_19
; %bb.18:
	v_add_f64_e32 v[66:67], v[76:77], v[80:81]
	v_add_f64_e32 v[22:23], v[72:73], v[36:37]
	v_add_f64_e64 v[74:75], v[68:69], -v[34:35]
	v_add_f64_e32 v[78:79], v[96:97], v[72:73]
	v_add_f64_e64 v[70:71], v[38:39], -v[32:33]
	v_add_f64_e64 v[87:88], v[76:77], -v[72:73]
	;; [unrolled: 1-line block ×4, first 2 shown]
	v_fma_f64 v[66:67], v[66:67], -0.5, v[96:97]
	v_fma_f64 v[22:23], v[22:23], -0.5, v[96:97]
	v_add_f64_e64 v[96:97], v[72:73], -v[76:77]
	v_add_f64_e32 v[78:79], v[78:79], v[76:77]
	v_add_f64_e32 v[87:88], v[87:88], v[89:90]
	v_fma_f64 v[102:103], v[74:75], s[4:5], v[66:67]
	v_fma_f64 v[100:101], v[70:71], s[4:5], v[22:23]
	;; [unrolled: 1-line block ×4, first 2 shown]
	v_add_f64_e32 v[89:90], v[96:97], v[98:99]
	v_add_f64_e32 v[78:79], v[78:79], v[80:81]
	v_fma_f64 v[98:99], v[70:71], s[12:13], v[102:103]
	v_fma_f64 v[96:97], v[74:75], s[14:15], v[100:101]
	v_fma_f64 v[22:23], v[74:75], s[12:13], v[22:23]
	v_fma_f64 v[66:67], v[70:71], s[14:15], v[66:67]
	v_add_f64_e32 v[70:71], v[78:79], v[36:37]
	v_fma_f64 v[78:79], v[89:90], s[18:19], v[98:99]
	v_fma_f64 v[74:75], v[87:88], s[18:19], v[96:97]
	;; [unrolled: 1-line block ×4, first 2 shown]
	v_and_b32_e32 v87, 0xffff, v82
	s_delay_alu instid0(VALU_DEP_1) | instskip(NEXT) | instid1(VALU_DEP_1)
	v_lshlrev_b32_e32 v87, 3, v87
	v_add3_u32 v87, 0, v83, v87
	ds_store_2addr_b64 v87, v[70:71], v[78:79] offset1:17
	ds_store_2addr_b64 v87, v[22:23], v[74:75] offset0:34 offset1:51
	ds_store_b64 v87, v[66:67] offset:544
.LBB0_19:
	s_wait_alu 0xfffe
	s_or_b32 exec_lo, exec_lo, s1
	v_add_f64_e32 v[22:23], v[16:17], v[14:15]
	v_add_f64_e32 v[66:67], v[40:41], v[2:3]
	;; [unrolled: 1-line block ×7, first 2 shown]
	v_add_f64_e64 v[54:55], v[54:55], -v[64:65]
	v_add_f64_e64 v[56:57], v[56:57], -v[58:59]
	v_add_f64_e32 v[58:59], v[24:25], v[20:21]
	v_add_f64_e32 v[64:65], v[28:29], v[12:13]
	v_add_f64_e64 v[46:47], v[46:47], -v[60:61]
	v_add_f64_e64 v[42:43], v[42:43], -v[48:49]
	;; [unrolled: 1-line block ×9, first 2 shown]
	global_wb scope:SCOPE_SE
	s_wait_dscnt 0x0
	s_barrier_signal -1
	s_barrier_wait -1
	global_inv scope:SCOPE_SE
	v_fma_f64 v[22:23], v[22:23], -0.5, v[30:31]
	v_fma_f64 v[30:31], v[66:67], -0.5, v[30:31]
	;; [unrolled: 1-line block ×6, first 2 shown]
	v_add_f64_e64 v[70:71], v[20:21], -v[18:19]
	v_add_f64_e64 v[20:21], v[18:19], -v[20:21]
	;; [unrolled: 1-line block ×4, first 2 shown]
	v_add_f64_e32 v[16:17], v[89:90], v[16:17]
	v_add_f64_e32 v[18:19], v[58:59], v[18:19]
	;; [unrolled: 1-line block ×3, first 2 shown]
	v_add_f64_e64 v[66:67], v[14:15], -v[2:3]
	v_add_f64_e64 v[74:75], v[4:5], -v[8:9]
	;; [unrolled: 1-line block ×3, first 2 shown]
	v_add_f64_e32 v[60:61], v[60:61], v[62:63]
	v_fma_f64 v[58:59], v[54:55], s[10:11], v[22:23]
	v_fma_f64 v[22:23], v[54:55], s[4:5], v[22:23]
	;; [unrolled: 1-line block ×12, first 2 shown]
	v_add_f64_e32 v[14:15], v[16:17], v[14:15]
	v_add_f64_e32 v[0:1], v[10:11], v[0:1]
	;; [unrolled: 1-line block ×8, first 2 shown]
	v_fma_f64 v[10:11], v[56:57], s[14:15], v[58:59]
	v_fma_f64 v[16:17], v[56:57], s[12:13], v[22:23]
	;; [unrolled: 1-line block ×12, first 2 shown]
	v_add_f64_e32 v[50:51], v[14:15], v[2:3]
	v_add_f64_e32 v[56:57], v[0:1], v[6:7]
	v_add_nc_u32_e32 v0, 0x800, v118
	v_add_f64_e32 v[52:53], v[8:9], v[4:5]
	v_add_nc_u32_e32 v1, 0xc00, v118
	v_add_nc_u32_e32 v2, 0x1000, v118
	;; [unrolled: 1-line block ×4, first 2 shown]
	v_fma_f64 v[58:59], v[60:61], s[18:19], v[10:11]
	v_fma_f64 v[60:61], v[60:61], s[18:19], v[16:17]
	;; [unrolled: 1-line block ×12, first 2 shown]
	ds_load_b64 v[74:75], v116
	ds_load_b64 v[78:79], v118 offset:10880
	ds_load_b64 v[130:131], v118
	ds_load_b64 v[70:71], v117
	;; [unrolled: 1-line block ×3, first 2 shown]
	v_add_nc_u32_e32 v24, 0x2000, v118
	ds_load_2addr_b64 v[8:11], v0 offset0:84 offset1:169
	ds_load_2addr_b64 v[16:19], v1 offset0:126 offset1:211
	;; [unrolled: 1-line block ×6, first 2 shown]
	global_wb scope:SCOPE_SE
	s_wait_dscnt 0x0
	s_barrier_signal -1
	s_barrier_wait -1
	global_inv scope:SCOPE_SE
	ds_store_2addr_b64 v85, v[50:51], v[58:59] offset1:17
	ds_store_2addr_b64 v85, v[64:65], v[40:41] offset0:34 offset1:51
	ds_store_b64 v85, v[60:61] offset:544
	ds_store_2addr_b64 v86, v[52:53], v[30:31] offset1:17
	ds_store_2addr_b64 v86, v[48:49], v[62:63] offset0:34 offset1:51
	ds_store_b64 v86, v[42:43] offset:544
	;; [unrolled: 3-line block ×3, first 2 shown]
	s_and_saveexec_b32 s1, s0
	s_cbranch_execz .LBB0_21
; %bb.20:
	v_add_f64_e32 v[28:29], v[38:39], v[32:33]
	v_add_f64_e32 v[30:31], v[68:69], v[34:35]
	;; [unrolled: 1-line block ×3, first 2 shown]
	v_add_f64_e64 v[36:37], v[72:73], -v[36:37]
	v_add_f64_e64 v[42:43], v[76:77], -v[80:81]
	s_mov_b32 s4, 0x134454ff
	s_mov_b32 s5, 0xbfee6f0e
	;; [unrolled: 1-line block ×3, first 2 shown]
	s_wait_alu 0xfffe
	s_mov_b32 s10, s4
	v_add_f64_e64 v[44:45], v[34:35], -v[32:33]
	v_add_f64_e64 v[46:47], v[38:39], -v[68:69]
	v_add_f64_e64 v[48:49], v[32:33], -v[34:35]
	v_and_b32_e32 v24, 0xffff, v82
	s_delay_alu instid0(VALU_DEP_1) | instskip(NEXT) | instid1(VALU_DEP_1)
	v_lshlrev_b32_e32 v24, 3, v24
	v_add3_u32 v24, 0, v83, v24
	v_fma_f64 v[28:29], v[28:29], -0.5, v[26:27]
	v_fma_f64 v[26:27], v[30:31], -0.5, v[26:27]
	v_add_f64_e64 v[30:31], v[68:69], -v[38:39]
	v_add_f64_e32 v[38:39], v[40:41], v[38:39]
	s_delay_alu instid0(VALU_DEP_4) | instskip(SKIP_1) | instid1(VALU_DEP_4)
	v_fma_f64 v[40:41], v[36:37], s[4:5], v[28:29]
	s_wait_alu 0xfffe
	v_fma_f64 v[50:51], v[42:43], s[10:11], v[26:27]
	v_fma_f64 v[26:27], v[42:43], s[4:5], v[26:27]
	;; [unrolled: 1-line block ×3, first 2 shown]
	s_mov_b32 s4, 0x4755a5e
	s_mov_b32 s5, 0xbfe2cf23
	;; [unrolled: 1-line block ×3, first 2 shown]
	s_wait_alu 0xfffe
	s_mov_b32 s10, s4
	v_add_f64_e32 v[30:31], v[30:31], v[44:45]
	v_add_f64_e32 v[32:33], v[38:39], v[32:33]
	;; [unrolled: 1-line block ×3, first 2 shown]
	v_fma_f64 v[38:39], v[42:43], s[4:5], v[40:41]
	v_fma_f64 v[40:41], v[36:37], s[4:5], v[50:51]
	s_wait_alu 0xfffe
	v_fma_f64 v[26:27], v[36:37], s[10:11], v[26:27]
	v_fma_f64 v[28:29], v[42:43], s[10:11], v[28:29]
	s_mov_b32 s4, 0x372fe950
	s_mov_b32 s5, 0x3fd3c6ef
	v_add_f64_e32 v[32:33], v[32:33], v[34:35]
	s_wait_alu 0xfffe
	v_fma_f64 v[34:35], v[30:31], s[4:5], v[38:39]
	v_fma_f64 v[36:37], v[44:45], s[4:5], v[40:41]
	;; [unrolled: 1-line block ×4, first 2 shown]
	ds_store_2addr_b64 v24, v[32:33], v[34:35] offset1:17
	ds_store_2addr_b64 v24, v[36:37], v[26:27] offset0:34 offset1:51
	ds_store_b64 v24, v[28:29] offset:544
.LBB0_21:
	s_wait_alu 0xfffe
	s_or_b32 exec_lo, exec_lo, s1
	global_wb scope:SCOPE_SE
	s_wait_dscnt 0x0
	s_barrier_signal -1
	s_barrier_wait -1
	global_inv scope:SCOPE_SE
	s_and_saveexec_b32 s0, vcc_lo
	s_cbranch_execz .LBB0_23
; %bb.22:
	v_dual_mov_b32 v27, 0 :: v_dual_lshlrev_b32 v26, 4, v112
	v_add_nc_u32_e32 v24, 0x1000, v118
	s_mov_b32 s0, 0x370991
	s_mov_b32 s1, 0x3fedd6d0
	;; [unrolled: 1-line block ×3, first 2 shown]
	v_lshlrev_b64_e32 v[26:27], 4, v[26:27]
	s_mov_b32 s11, 0x3fe7a5f6
	s_mov_b32 s12, 0x2a9d6da3
	;; [unrolled: 1-line block ×5, first 2 shown]
	v_add_co_u32 v68, vcc_lo, s8, v26
	s_wait_alu 0xfffd
	v_add_co_ci_u32_e32 v69, vcc_lo, s9, v27, vcc_lo
	s_mov_b32 s8, 0x7c9e640b
	s_mov_b32 s9, 0xbfeca52d
	s_clause 0x1
	global_load_b128 v[28:31], v[68:69], off offset:1200
	global_load_b128 v[32:35], v[68:69], off offset:1184
	ds_load_2addr_b64 v[36:39], v24 offset0:168 offset1:253
	s_clause 0x1
	global_load_b128 v[40:43], v[68:69], off offset:1216
	global_load_b128 v[44:47], v[68:69], off offset:1232
	v_add_nc_u32_e32 v24, 0xc00, v118
	s_mov_b32 s48, 0xeb564b22
	s_mov_b32 s49, 0xbfefdd0d
	;; [unrolled: 1-line block ×7, first 2 shown]
	s_wait_alu 0xfffe
	s_mov_b32 s26, s34
	s_mov_b32 s24, 0x6ed5f1bb
	s_mov_b32 s25, 0xbfe348c8
	s_mov_b32 s30, 0x6c9a05f6
	s_mov_b32 s31, 0x3fe9895b
	s_mov_b32 s47, 0xbfe9895b
	s_wait_alu 0xfffe
	s_mov_b32 s46, s30
	s_mov_b32 s14, 0x910ea3b9
	s_mov_b32 s15, 0xbfeb34fa
	s_mov_b32 s22, 0x4363dd80
	s_mov_b32 s23, 0x3fe0d888
	s_mov_b32 s37, 0xbfe0d888
	;; [unrolled: 7-line block ×4, first 2 shown]
	s_mov_b32 s51, 0x3fefdd0d
	s_mov_b32 s50, s48
	s_wait_loadcnt 0x3
	v_mul_f64_e32 v[26:27], v[20:21], v[30:31]
	s_wait_dscnt 0x0
	v_mul_f64_e32 v[30:31], v[36:37], v[30:31]
	s_delay_alu instid0(VALU_DEP_2) | instskip(NEXT) | instid1(VALU_DEP_2)
	v_fma_f64 v[26:27], v[36:37], v[28:29], v[26:27]
	v_fma_f64 v[20:21], v[20:21], v[28:29], -v[30:31]
	s_wait_loadcnt 0x1
	v_mul_f64_e32 v[30:31], v[38:39], v[42:43]
	v_mul_f64_e32 v[28:29], v[22:23], v[42:43]
	s_delay_alu instid0(VALU_DEP_2) | instskip(SKIP_1) | instid1(VALU_DEP_3)
	v_fma_f64 v[30:31], v[22:23], v[40:41], -v[30:31]
	v_mul_f64_e32 v[22:23], v[18:19], v[34:35]
	v_fma_f64 v[28:29], v[38:39], v[40:41], v[28:29]
	ds_load_2addr_b64 v[36:39], v24 offset0:126 offset1:211
	v_add_nc_u32_e32 v24, 0x1800, v118
	s_wait_dscnt 0x0
	v_mul_f64_e32 v[34:35], v[38:39], v[34:35]
	v_fma_f64 v[22:23], v[38:39], v[32:33], v[22:23]
	s_clause 0x1
	global_load_b128 v[38:41], v[68:69], off offset:1168
	global_load_b128 v[48:51], v[68:69], off offset:1152
	v_fma_f64 v[18:19], v[18:19], v[32:33], -v[34:35]
	s_wait_loadcnt 0x1
	v_mul_f64_e32 v[32:33], v[16:17], v[40:41]
	v_mul_f64_e32 v[34:35], v[36:37], v[40:41]
	s_delay_alu instid0(VALU_DEP_2) | instskip(NEXT) | instid1(VALU_DEP_2)
	v_fma_f64 v[32:33], v[36:37], v[38:39], v[32:33]
	v_fma_f64 v[16:17], v[16:17], v[38:39], -v[34:35]
	ds_load_2addr_b64 v[36:39], v24 offset0:82 offset1:167
	s_clause 0x1
	global_load_b128 v[40:43], v[68:69], off offset:1248
	global_load_b128 v[52:55], v[68:69], off offset:1264
	v_mul_f64_e32 v[34:35], v[12:13], v[46:47]
	v_add_nc_u32_e32 v24, 0x800, v118
	ds_load_2addr_b64 v[56:59], v24 offset0:84 offset1:169
	s_wait_dscnt 0x1
	v_fma_f64 v[34:35], v[36:37], v[44:45], v[34:35]
	v_mul_f64_e32 v[36:37], v[36:37], v[46:47]
	s_delay_alu instid0(VALU_DEP_2) | instskip(NEXT) | instid1(VALU_DEP_2)
	v_add_f64_e32 v[138:139], v[22:23], v[34:35]
	v_fma_f64 v[12:13], v[12:13], v[44:45], -v[36:37]
	v_add_f64_e64 v[136:137], v[22:23], -v[34:35]
	s_delay_alu instid0(VALU_DEP_3) | instskip(SKIP_1) | instid1(VALU_DEP_2)
	v_mul_f64_e32 v[124:125], s[10:11], v[138:139]
	s_wait_alu 0xfffe
	v_mul_f64_e32 v[126:127], s[44:45], v[136:137]
	s_wait_loadcnt 0x1
	v_mul_f64_e32 v[36:37], v[14:15], v[42:43]
	s_delay_alu instid0(VALU_DEP_1) | instskip(SKIP_1) | instid1(VALU_DEP_2)
	v_fma_f64 v[36:37], v[38:39], v[40:41], v[36:37]
	v_mul_f64_e32 v[38:39], v[38:39], v[42:43]
	v_add_f64_e32 v[142:143], v[32:33], v[36:37]
	s_delay_alu instid0(VALU_DEP_2) | instskip(SKIP_2) | instid1(VALU_DEP_4)
	v_fma_f64 v[40:41], v[14:15], v[40:41], -v[38:39]
	v_mul_f64_e32 v[14:15], v[10:11], v[50:51]
	v_add_f64_e64 v[140:141], v[32:33], -v[36:37]
	v_mul_f64_e32 v[120:121], s[20:21], v[142:143]
	s_wait_dscnt 0x0
	s_delay_alu instid0(VALU_DEP_3) | instskip(SKIP_1) | instid1(VALU_DEP_4)
	v_fma_f64 v[38:39], v[58:59], v[48:49], v[14:15]
	v_mul_f64_e32 v[14:15], v[58:59], v[50:51]
	v_mul_f64_e32 v[122:123], s[38:39], v[140:141]
	s_delay_alu instid0(VALU_DEP_2)
	v_fma_f64 v[42:43], v[10:11], v[48:49], -v[14:15]
	s_clause 0x1
	global_load_b128 v[46:49], v[68:69], off offset:1136
	global_load_b128 v[80:83], v[68:69], off offset:1120
	s_wait_loadcnt 0x2
	v_mul_f64_e32 v[14:15], v[4:5], v[54:55]
	s_wait_loadcnt 0x1
	v_mul_f64_e32 v[10:11], v[8:9], v[48:49]
	s_delay_alu instid0(VALU_DEP_1) | instskip(SKIP_1) | instid1(VALU_DEP_1)
	v_fma_f64 v[44:45], v[56:57], v[46:47], v[10:11]
	v_mul_f64_e32 v[10:11], v[56:57], v[48:49]
	v_fma_f64 v[46:47], v[8:9], v[46:47], -v[10:11]
	v_add_nc_u32_e32 v8, 0x1c00, v118
	ds_load_2addr_b64 v[8:11], v8 offset0:124 offset1:209
	s_wait_dscnt 0x0
	v_fma_f64 v[48:49], v[8:9], v[52:53], v[14:15]
	v_mul_f64_e32 v[8:9], v[8:9], v[54:55]
	s_clause 0x1
	global_load_b128 v[54:57], v[68:69], off offset:1280
	global_load_b128 v[58:61], v[68:69], off offset:1296
	v_add_f64_e32 v[146:147], v[38:39], v[48:49]
	v_fma_f64 v[52:53], v[4:5], v[52:53], -v[8:9]
	v_add_f64_e64 v[144:145], v[38:39], -v[48:49]
	s_delay_alu instid0(VALU_DEP_3) | instskip(SKIP_4) | instid1(VALU_DEP_2)
	v_mul_f64_e32 v[112:113], s[0:1], v[146:147]
	s_wait_loadcnt 0x1
	v_mul_f64_e32 v[4:5], v[6:7], v[56:57]
	s_wait_loadcnt 0x0
	v_mul_f64_e32 v[8:9], v[0:1], v[60:61]
	v_fma_f64 v[50:51], v[10:11], v[54:55], v[4:5]
	v_mul_f64_e32 v[4:5], v[10:11], v[56:57]
	s_delay_alu instid0(VALU_DEP_2) | instskip(NEXT) | instid1(VALU_DEP_2)
	v_add_f64_e32 v[150:151], v[44:45], v[50:51]
	v_fma_f64 v[56:57], v[6:7], v[54:55], -v[4:5]
	v_add_nc_u32_e32 v4, 0x2000, v118
	v_add_f64_e64 v[148:149], v[44:45], -v[50:51]
	ds_load_2addr_b64 v[4:7], v4 offset0:166 offset1:251
	s_wait_dscnt 0x0
	v_fma_f64 v[54:55], v[4:5], v[58:59], v[8:9]
	s_clause 0x1
	global_load_b128 v[8:11], v[68:69], off offset:1312
	global_load_b128 v[84:87], v[68:69], off offset:1328
	v_mul_f64_e32 v[4:5], v[4:5], v[60:61]
	v_mul_f64_e32 v[100:101], s[24:25], v[150:151]
	;; [unrolled: 1-line block ×3, first 2 shown]
	s_delay_alu instid0(VALU_DEP_3) | instskip(SKIP_2) | instid1(VALU_DEP_1)
	v_fma_f64 v[58:59], v[0:1], v[58:59], -v[4:5]
	s_wait_loadcnt 0x1
	v_mul_f64_e32 v[0:1], v[2:3], v[10:11]
	v_fma_f64 v[60:61], v[6:7], v[8:9], v[0:1]
	v_mul_f64_e32 v[0:1], v[6:7], v[10:11]
	s_delay_alu instid0(VALU_DEP_1)
	v_fma_f64 v[62:63], v[2:3], v[8:9], -v[0:1]
	v_mul_f64_e32 v[2:3], v[66:67], v[82:83]
	ds_load_b64 v[0:1], v119
	ds_load_b64 v[8:9], v118 offset:10880
	ds_load_b64 v[10:11], v117
	ds_load_b64 v[14:15], v116
	v_mul_f64_e32 v[116:117], s[44:45], v[144:145]
	s_wait_dscnt 0x3
	v_fma_f64 v[64:65], v[0:1], v[80:81], v[2:3]
	v_mul_f64_e32 v[0:1], v[0:1], v[82:83]
	s_delay_alu instid0(VALU_DEP_2) | instskip(NEXT) | instid1(VALU_DEP_2)
	v_add_f64_e32 v[154:155], v[64:65], v[54:55]
	v_fma_f64 v[66:67], v[66:67], v[80:81], -v[0:1]
	s_clause 0x1
	global_load_b128 v[0:3], v[68:69], off offset:1104
	global_load_b128 v[4:7], v[68:69], off offset:1088
	v_add_f64_e64 v[152:153], v[64:65], -v[54:55]
	s_delay_alu instid0(VALU_DEP_1) | instskip(SKIP_4) | instid1(VALU_DEP_2)
	v_mul_f64_e32 v[98:99], s[48:49], v[152:153]
	s_wait_loadcnt 0x1
	v_mul_f64_e32 v[68:69], v[70:71], v[2:3]
	s_wait_dscnt 0x1
	v_mul_f64_e32 v[2:3], v[10:11], v[2:3]
	v_fma_f64 v[68:69], v[10:11], v[0:1], v[68:69]
	s_delay_alu instid0(VALU_DEP_2) | instskip(SKIP_2) | instid1(VALU_DEP_3)
	v_fma_f64 v[72:73], v[70:71], v[0:1], -v[2:3]
	s_wait_loadcnt 0x0
	v_mul_f64_e32 v[0:1], v[74:75], v[6:7]
	v_add_f64_e32 v[164:165], v[68:69], v[60:61]
	v_add_f64_e64 v[156:157], v[68:69], -v[60:61]
	s_wait_dscnt 0x0
	s_delay_alu instid0(VALU_DEP_3)
	v_fma_f64 v[70:71], v[14:15], v[4:5], v[0:1]
	v_mul_f64_e32 v[0:1], v[14:15], v[6:7]
	v_mad_co_u64_u32 v[6:7], null, s2, v94, 0
	v_add_f64_e64 v[14:15], v[18:19], -v[12:13]
	v_mul_f64_e32 v[82:83], s[48:49], v[156:157]
	v_mul_f64_e32 v[170:171], s[38:39], v[156:157]
	v_fma_f64 v[74:75], v[74:75], v[4:5], -v[0:1]
	v_mul_f64_e32 v[0:1], v[78:79], v[86:87]
	ds_load_b64 v[4:5], v118
	v_mul_f64_e32 v[118:119], s[34:35], v[148:149]
	v_mul_f64_e32 v[209:210], s[22:23], v[156:157]
	;; [unrolled: 1-line block ×4, first 2 shown]
	v_add_f64_e32 v[2:3], v[130:131], v[74:75]
	v_fma_f64 v[76:77], v[8:9], v[84:85], v[0:1]
	v_mul_f64_e32 v[0:1], v[8:9], v[86:87]
	v_mul_f64_e32 v[86:87], s[20:21], v[150:151]
	s_delay_alu instid0(VALU_DEP_4) | instskip(NEXT) | instid1(VALU_DEP_4)
	v_add_f64_e32 v[2:3], v[72:73], v[2:3]
	v_add_f64_e32 v[178:179], v[70:71], v[76:77]
	s_delay_alu instid0(VALU_DEP_4)
	v_fma_f64 v[78:79], v[78:79], v[84:85], -v[0:1]
	v_mul_lo_u32 v0, s3, v94
	v_mul_lo_u32 v1, s2, v95
	s_mov_b32 s2, 0x5d8e7cdc
	s_mov_b32 s3, 0xbfd71e95
	v_add_f64_e64 v[166:167], v[70:71], -v[76:77]
	v_mul_f64_e32 v[84:85], s[24:25], v[154:155]
	s_wait_alu 0xfffe
	s_mov_b32 s40, s2
	v_mul_f64_e32 v[114:115], s[2:3], v[144:145]
	v_add3_u32 v7, v7, v1, v0
	s_wait_dscnt 0x0
	v_add_f64_e32 v[0:1], v[4:5], v[70:71]
	v_mul_f64_e32 v[70:71], s[0:1], v[142:143]
	s_delay_alu instid0(VALU_DEP_3)
	v_lshlrev_b64_e32 v[6:7], 4, v[6:7]
	v_add_f64_e32 v[2:3], v[66:67], v[2:3]
	v_mul_f64_e32 v[24:25], s[0:1], v[178:179]
	v_mul_f64_e32 v[134:135], s[4:5], v[178:179]
	;; [unrolled: 1-line block ×7, first 2 shown]
	v_add_f64_e32 v[0:1], v[68:69], v[0:1]
	v_mul_f64_e32 v[68:69], s[2:3], v[140:141]
	v_add_f64_e32 v[2:3], v[46:47], v[2:3]
	scratch_store_b64 off, v[24:25], off offset:112 ; 8-byte Folded Spill
	v_add_f64_e32 v[0:1], v[64:65], v[0:1]
	v_mul_f64_e32 v[64:65], s[18:19], v[150:151]
	v_add_f64_e32 v[2:3], v[42:43], v[2:3]
	s_delay_alu instid0(VALU_DEP_3) | instskip(SKIP_1) | instid1(VALU_DEP_3)
	v_add_f64_e32 v[0:1], v[44:45], v[0:1]
	v_mul_f64_e32 v[44:45], s[20:21], v[138:139]
	v_add_f64_e32 v[2:3], v[16:17], v[2:3]
	s_delay_alu instid0(VALU_DEP_3) | instskip(NEXT) | instid1(VALU_DEP_2)
	v_add_f64_e32 v[0:1], v[38:39], v[0:1]
	v_add_f64_e32 v[2:3], v[18:19], v[2:3]
	s_delay_alu instid0(VALU_DEP_2) | instskip(NEXT) | instid1(VALU_DEP_2)
	v_add_f64_e32 v[0:1], v[32:33], v[0:1]
	v_add_f64_e32 v[2:3], v[20:21], v[2:3]
	s_delay_alu instid0(VALU_DEP_2) | instskip(SKIP_1) | instid1(VALU_DEP_3)
	v_add_f64_e32 v[0:1], v[22:23], v[0:1]
	v_add_f64_e32 v[22:23], v[46:47], v[56:57]
	;; [unrolled: 1-line block ×3, first 2 shown]
	s_delay_alu instid0(VALU_DEP_3) | instskip(NEXT) | instid1(VALU_DEP_2)
	v_add_f64_e32 v[0:1], v[26:27], v[0:1]
	v_add_f64_e32 v[2:3], v[12:13], v[2:3]
	s_delay_alu instid0(VALU_DEP_2) | instskip(NEXT) | instid1(VALU_DEP_2)
	v_add_f64_e32 v[0:1], v[28:29], v[0:1]
	v_add_f64_e32 v[2:3], v[40:41], v[2:3]
	s_delay_alu instid0(VALU_DEP_2) | instskip(SKIP_1) | instid1(VALU_DEP_3)
	v_add_f64_e32 v[0:1], v[34:35], v[0:1]
	v_add_f64_e32 v[34:35], v[72:73], v[62:63]
	;; [unrolled: 1-line block ×3, first 2 shown]
	s_delay_alu instid0(VALU_DEP_3) | instskip(NEXT) | instid1(VALU_DEP_3)
	v_add_f64_e32 v[0:1], v[36:37], v[0:1]
	v_fma_f64 v[174:175], v[34:35], s[20:21], -v[170:171]
	v_fma_f64 v[211:212], v[34:35], s[14:15], -v[209:210]
	;; [unrolled: 1-line block ×3, first 2 shown]
	v_add_f64_e32 v[2:3], v[56:57], v[2:3]
	v_add_f64_e32 v[0:1], v[48:49], v[0:1]
	v_mul_f64_e32 v[48:49], s[10:11], v[142:143]
	s_delay_alu instid0(VALU_DEP_3) | instskip(NEXT) | instid1(VALU_DEP_3)
	v_add_f64_e32 v[2:3], v[58:59], v[2:3]
	v_add_f64_e32 v[0:1], v[50:51], v[0:1]
	s_delay_alu instid0(VALU_DEP_2) | instskip(NEXT) | instid1(VALU_DEP_2)
	v_add_f64_e32 v[8:9], v[62:63], v[2:3]
	v_add_f64_e32 v[0:1], v[54:55], v[0:1]
	v_mul_f64_e32 v[54:55], s[20:21], v[154:155]
	s_delay_alu instid0(VALU_DEP_2) | instskip(SKIP_1) | instid1(VALU_DEP_2)
	v_add_f64_e32 v[0:1], v[60:61], v[0:1]
	v_add_f64_e64 v[60:61], v[74:75], -v[78:79]
	v_add_f64_e32 v[2:3], v[76:77], v[0:1]
	v_add_f64_e32 v[0:1], v[78:79], v[8:9]
	v_mad_co_u64_u32 v[8:9], null, s16, v196, 0
	s_delay_alu instid0(VALU_DEP_4) | instskip(SKIP_1) | instid1(VALU_DEP_3)
	v_fma_f64 v[32:33], v[60:61], s[2:3], v[24:25]
	v_mul_f64_e32 v[24:25], s[10:11], v[164:165]
	v_mad_co_u64_u32 v[9:10], null, s17, v196, v[9:10]
	v_add_co_u32 v10, vcc_lo, s6, v6
	s_wait_alu 0xfffd
	v_add_co_ci_u32_e32 v11, vcc_lo, s7, v7, vcc_lo
	v_lshlrev_b64_e32 v[6:7], 4, v[92:93]
	s_mov_b32 s6, 0x3259b75e
	s_mov_b32 s7, 0x3fb79ee6
	v_mul_f64_e32 v[92:93], s[46:47], v[152:153]
	s_wait_alu 0xfffe
	v_mul_f64_e32 v[94:95], s[6:7], v[164:165]
	v_mul_f64_e32 v[96:97], s[6:7], v[154:155]
	v_add_co_u32 v197, vcc_lo, v10, v6
	s_wait_alu 0xfffd
	v_add_co_ci_u32_e32 v198, vcc_lo, v11, v7, vcc_lo
	v_add_f64_e32 v[10:11], v[18:19], v[12:13]
	v_add_f64_e64 v[18:19], v[16:17], -v[40:41]
	v_add_f64_e32 v[12:13], v[16:17], v[40:41]
	v_add_f64_e64 v[40:41], v[72:73], -v[62:63]
	v_lshlrev_b64_e32 v[6:7], 4, v[8:9]
	v_add_f64_e64 v[8:9], v[20:21], -v[30:31]
	v_add_f64_e32 v[16:17], v[42:43], v[52:53]
	v_mul_f64_e32 v[62:63], s[28:29], v[152:153]
	s_delay_alu instid0(VALU_DEP_4)
	v_add_co_u32 v6, vcc_lo, v197, v6
	s_wait_alu 0xfffd
	v_add_co_ci_u32_e32 v7, vcc_lo, v198, v7, vcc_lo
	v_add_f64_e32 v[32:33], v[4:5], v[32:33]
	global_store_b128 v[6:7], v[0:3], off
	v_add_f64_e32 v[0:1], v[26:27], v[28:29]
	v_add_f64_e64 v[2:3], v[26:27], -v[28:29]
	v_add_f64_e64 v[26:27], v[46:47], -v[56:57]
	v_add_f64_e32 v[56:57], v[74:75], v[78:79]
	scratch_store_b64 off, v[24:25], off offset:88 ; 8-byte Folded Spill
	v_add_f64_e32 v[6:7], v[20:21], v[30:31]
	v_add_f64_e64 v[30:31], v[66:67], -v[58:59]
	v_add_f64_e32 v[28:29], v[66:67], v[58:59]
	v_add_f64_e64 v[20:21], v[42:43], -v[52:53]
	v_mul_f64_e32 v[58:59], s[24:25], v[164:165]
	v_mul_f64_e32 v[52:53], s[46:47], v[156:157]
	;; [unrolled: 1-line block ×4, first 2 shown]
	v_fma_f64 v[36:37], v[40:41], s[12:13], v[24:25]
	v_mul_f64_e32 v[24:25], s[2:3], v[166:167]
	v_mul_f64_e32 v[233:234], s[24:25], v[0:1]
	;; [unrolled: 1-line block ×4, first 2 shown]
	v_add_f64_e32 v[32:33], v[36:37], v[32:33]
	scratch_store_b64 off, v[24:25], off offset:120 ; 8-byte Folded Spill
	v_fma_f64 v[36:37], v[56:57], s[0:1], -v[24:25]
	v_mul_f64_e32 v[24:25], s[12:13], v[156:157]
	v_mul_f64_e32 v[156:157], s[40:41], v[156:157]
	s_delay_alu instid0(VALU_DEP_3) | instskip(SKIP_3) | instid1(VALU_DEP_2)
	v_add_f64_e32 v[36:37], v[130:131], v[36:37]
	scratch_store_b64 off, v[24:25], off offset:96 ; 8-byte Folded Spill
	v_fma_f64 v[38:39], v[34:35], s[10:11], -v[24:25]
	v_mul_f64_e32 v[24:25], s[4:5], v[154:155]
	v_add_f64_e32 v[36:37], v[38:39], v[36:37]
	scratch_store_b64 off, v[24:25], off offset:104 ; 8-byte Folded Spill
	v_fma_f64 v[38:39], v[30:31], s[8:9], v[24:25]
	v_mul_f64_e32 v[24:25], s[8:9], v[152:153]
	s_delay_alu instid0(VALU_DEP_2) | instskip(SKIP_3) | instid1(VALU_DEP_2)
	v_add_f64_e32 v[32:33], v[38:39], v[32:33]
	scratch_store_b64 off, v[24:25], off offset:72 ; 8-byte Folded Spill
	v_fma_f64 v[38:39], v[28:29], s[4:5], -v[24:25]
	v_mul_f64_e32 v[24:25], s[6:7], v[150:151]
	v_add_f64_e32 v[36:37], v[38:39], v[36:37]
	scratch_store_b64 off, v[24:25], off offset:80 ; 8-byte Folded Spill
	v_fma_f64 v[38:39], v[26:27], s[48:49], v[24:25]
	v_mul_f64_e32 v[24:25], s[48:49], v[148:149]
	s_delay_alu instid0(VALU_DEP_2) | instskip(SKIP_3) | instid1(VALU_DEP_2)
	;; [unrolled: 9-line block ×3, first 2 shown]
	v_add_f64_e32 v[32:33], v[38:39], v[32:33]
	scratch_store_b64 off, v[24:25], off offset:32 ; 8-byte Folded Spill
	v_fma_f64 v[38:39], v[16:17], s[18:19], -v[24:25]
	v_mul_f64_e32 v[24:25], s[24:25], v[142:143]
	v_add_f64_e32 v[36:37], v[38:39], v[36:37]
	scratch_store_b64 off, v[24:25], off offset:56 ; 8-byte Folded Spill
	v_fma_f64 v[38:39], v[18:19], s[46:47], v[24:25]
	v_mul_f64_e32 v[24:25], s[46:47], v[140:141]
	s_delay_alu instid0(VALU_DEP_2) | instskip(SKIP_4) | instid1(VALU_DEP_3)
	v_add_f64_e32 v[32:33], v[38:39], v[32:33]
	scratch_store_b64 off, v[24:25], off offset:16 ; 8-byte Folded Spill
	v_fma_f64 v[42:43], v[12:13], s[24:25], -v[24:25]
	v_mul_f64_e32 v[24:25], s[14:15], v[138:139]
	v_mul_f64_e32 v[38:39], s[4:5], v[0:1]
	v_add_f64_e32 v[42:43], v[42:43], v[36:37]
	scratch_store_b64 off, v[24:25], off offset:40 ; 8-byte Folded Spill
	v_fma_f64 v[36:37], v[14:15], s[36:37], v[24:25]
	v_mul_f64_e32 v[24:25], s[36:37], v[136:137]
	s_delay_alu instid0(VALU_DEP_2) | instskip(SKIP_4) | instid1(VALU_DEP_3)
	v_add_f64_e32 v[32:33], v[36:37], v[32:33]
	scratch_store_b64 off, v[24:25], off offset:8 ; 8-byte Folded Spill
	v_fma_f64 v[72:73], v[10:11], s[14:15], -v[24:25]
	v_mul_f64_e32 v[24:25], s[20:21], v[0:1]
	v_mul_f64_e32 v[36:37], s[42:43], v[2:3]
	v_add_f64_e32 v[72:73], v[72:73], v[42:43]
	scratch_store_b64 off, v[24:25], off offset:24 ; 8-byte Folded Spill
	v_fma_f64 v[74:75], v[8:9], s[38:39], v[24:25]
	v_mul_f64_e32 v[24:25], s[38:39], v[2:3]
	v_mul_f64_e32 v[42:43], s[38:39], v[136:137]
	s_delay_alu instid0(VALU_DEP_3) | instskip(NEXT) | instid1(VALU_DEP_3)
	v_add_f64_e32 v[74:75], v[74:75], v[32:33]
	v_fma_f64 v[76:77], v[6:7], s[20:21], -v[24:25]
	scratch_store_b64 off, v[24:25], off    ; 8-byte Folded Spill
	v_add_nc_u32_e32 v24, 0x55, v196
	v_add_f64_e32 v[72:73], v[76:77], v[72:73]
	s_delay_alu instid0(VALU_DEP_2) | instskip(NEXT) | instid1(VALU_DEP_1)
	v_mad_co_u64_u32 v[76:77], null, s16, v24, 0
	v_mad_co_u64_u32 v[77:78], null, s17, v24, v[77:78]
	v_mul_f64_e32 v[78:79], s[10:11], v[178:179]
	v_mul_f64_e32 v[24:25], s[38:39], v[148:149]
	s_delay_alu instid0(VALU_DEP_3) | instskip(NEXT) | instid1(VALU_DEP_1)
	v_lshlrev_b64_e32 v[76:77], 4, v[76:77]
	v_add_co_u32 v76, vcc_lo, v197, v76
	s_wait_alu 0xfffd
	s_delay_alu instid0(VALU_DEP_2)
	v_add_co_ci_u32_e32 v77, vcc_lo, v198, v77, vcc_lo
	global_store_b128 v[76:77], v[72:75], off
	v_fma_f64 v[74:75], v[40:41], s[48:49], v[94:95]
	v_fma_f64 v[76:77], v[34:35], s[6:7], -v[82:83]
	v_fma_f64 v[72:73], v[60:61], s[12:13], v[78:79]
	scratch_store_b64 off, v[24:25], off offset:184 ; 8-byte Folded Spill
	v_add_f64_e32 v[72:73], v[4:5], v[72:73]
	s_delay_alu instid0(VALU_DEP_1) | instskip(SKIP_1) | instid1(VALU_DEP_1)
	v_add_f64_e32 v[72:73], v[74:75], v[72:73]
	v_fma_f64 v[74:75], v[56:57], s[10:11], -v[80:81]
	v_add_f64_e32 v[74:75], v[130:131], v[74:75]
	s_delay_alu instid0(VALU_DEP_1) | instskip(SKIP_1) | instid1(VALU_DEP_1)
	v_add_f64_e32 v[74:75], v[76:77], v[74:75]
	v_fma_f64 v[76:77], v[30:31], s[46:47], v[84:85]
	v_add_f64_e32 v[72:73], v[76:77], v[72:73]
	v_fma_f64 v[76:77], v[28:29], s[24:25], -v[92:93]
	s_delay_alu instid0(VALU_DEP_1) | instskip(SKIP_1) | instid1(VALU_DEP_1)
	v_add_f64_e32 v[74:75], v[76:77], v[74:75]
	v_fma_f64 v[76:77], v[26:27], s[38:39], v[86:87]
	v_add_f64_e32 v[72:73], v[76:77], v[72:73]
	v_fma_f64 v[76:77], v[22:23], s[20:21], -v[24:25]
	v_mul_f64_e32 v[24:25], s[14:15], v[146:147]
	s_delay_alu instid0(VALU_DEP_2) | instskip(SKIP_3) | instid1(VALU_DEP_2)
	v_add_f64_e32 v[74:75], v[76:77], v[74:75]
	scratch_store_b64 off, v[24:25], off offset:176 ; 8-byte Folded Spill
	v_fma_f64 v[76:77], v[20:21], s[22:23], v[24:25]
	v_mul_f64_e32 v[24:25], s[22:23], v[144:145]
	v_add_f64_e32 v[72:73], v[76:77], v[72:73]
	scratch_store_b64 off, v[24:25], off offset:168 ; 8-byte Folded Spill
	v_fma_f64 v[76:77], v[16:17], s[14:15], -v[24:25]
	v_mul_f64_e32 v[24:25], s[18:19], v[142:143]
	s_delay_alu instid0(VALU_DEP_2) | instskip(SKIP_3) | instid1(VALU_DEP_2)
	v_add_f64_e32 v[74:75], v[76:77], v[74:75]
	scratch_store_b64 off, v[24:25], off offset:160 ; 8-byte Folded Spill
	v_fma_f64 v[76:77], v[18:19], s[34:35], v[24:25]
	v_mul_f64_e32 v[24:25], s[34:35], v[140:141]
	v_add_f64_e32 v[72:73], v[76:77], v[72:73]
	scratch_store_b64 off, v[24:25], off offset:144 ; 8-byte Folded Spill
	v_fma_f64 v[76:77], v[12:13], s[18:19], -v[24:25]
	v_mul_f64_e32 v[24:25], s[4:5], v[138:139]
	s_delay_alu instid0(VALU_DEP_2) | instskip(SKIP_3) | instid1(VALU_DEP_2)
	v_add_f64_e32 v[76:77], v[76:77], v[74:75]
	scratch_store_b64 off, v[24:25], off offset:152 ; 8-byte Folded Spill
	v_fma_f64 v[74:75], v[14:15], s[42:43], v[24:25]
	v_mul_f64_e32 v[24:25], s[42:43], v[136:137]
	v_add_f64_e32 v[72:73], v[74:75], v[72:73]
	s_delay_alu instid0(VALU_DEP_2)
	v_fma_f64 v[104:105], v[10:11], s[4:5], -v[24:25]
	scratch_store_b64 off, v[24:25], off offset:136 ; 8-byte Folded Spill
	v_mul_f64_e32 v[24:25], s[40:41], v[2:3]
	v_add_nc_u32_e32 v74, 0x253, v196
	v_add_f64_e32 v[104:105], v[104:105], v[76:77]
	v_mul_f64_e32 v[76:77], s[0:1], v[0:1]
	s_delay_alu instid0(VALU_DEP_4) | instskip(SKIP_4) | instid1(VALU_DEP_3)
	v_fma_f64 v[108:109], v[6:7], s[0:1], -v[24:25]
	scratch_store_b64 off, v[24:25], off offset:128 ; 8-byte Folded Spill
	v_add_nc_u32_e32 v24, 0xaa, v196
	v_fma_f64 v[106:107], v[8:9], s[40:41], v[76:77]
	v_add_f64_e32 v[104:105], v[108:109], v[104:105]
	v_mad_co_u64_u32 v[108:109], null, s16, v24, 0
	s_delay_alu instid0(VALU_DEP_1) | instskip(SKIP_2) | instid1(VALU_DEP_3)
	v_mad_co_u64_u32 v[109:110], null, s17, v24, v[109:110]
	v_mul_f64_e32 v[110:111], s[6:7], v[138:139]
	v_add_nc_u32_e32 v24, 0xff, v196
	v_lshlrev_b64_e32 v[108:109], 4, v[108:109]
	s_delay_alu instid0(VALU_DEP_1) | instskip(SKIP_1) | instid1(VALU_DEP_2)
	v_add_co_u32 v108, vcc_lo, v197, v108
	s_wait_alu 0xfffd
	v_add_co_ci_u32_e32 v109, vcc_lo, v198, v109, vcc_lo
	v_add_f64_e32 v[106:107], v[106:107], v[72:73]
	global_store_b128 v[108:109], v[104:107], off
	v_fma_f64 v[104:105], v[60:61], s[8:9], v[134:135]
	v_fma_f64 v[106:107], v[40:41], s[46:47], v[58:59]
	v_fma_f64 v[108:109], v[34:35], s[24:25], -v[52:53]
	s_delay_alu instid0(VALU_DEP_3) | instskip(NEXT) | instid1(VALU_DEP_1)
	v_add_f64_e32 v[104:105], v[4:5], v[104:105]
	v_add_f64_e32 v[104:105], v[106:107], v[104:105]
	v_fma_f64 v[106:107], v[56:57], s[4:5], -v[132:133]
	s_delay_alu instid0(VALU_DEP_1) | instskip(NEXT) | instid1(VALU_DEP_1)
	v_add_f64_e32 v[106:107], v[130:131], v[106:107]
	v_add_f64_e32 v[106:107], v[108:109], v[106:107]
	v_fma_f64 v[108:109], v[30:31], s[28:29], v[54:55]
	v_fma_f64 v[54:55], v[30:31], s[38:39], v[54:55]
	s_delay_alu instid0(VALU_DEP_2) | instskip(SKIP_1) | instid1(VALU_DEP_1)
	v_add_f64_e32 v[104:105], v[108:109], v[104:105]
	v_fma_f64 v[108:109], v[28:29], s[20:21], -v[62:63]
	v_add_f64_e32 v[106:107], v[108:109], v[106:107]
	v_fma_f64 v[108:109], v[26:27], s[34:35], v[64:65]
	s_delay_alu instid0(VALU_DEP_1) | instskip(SKIP_1) | instid1(VALU_DEP_1)
	v_add_f64_e32 v[104:105], v[108:109], v[104:105]
	v_fma_f64 v[108:109], v[22:23], s[18:19], -v[118:119]
	v_add_f64_e32 v[106:107], v[108:109], v[106:107]
	v_fma_f64 v[108:109], v[20:21], s[44:45], v[66:67]
	s_delay_alu instid0(VALU_DEP_1) | instskip(SKIP_1) | instid1(VALU_DEP_1)
	;; [unrolled: 5-line block ×4, first 2 shown]
	v_add_f64_e32 v[104:105], v[108:109], v[104:105]
	v_mul_f64_e32 v[108:109], s[48:49], v[136:137]
	v_fma_f64 v[158:159], v[10:11], s[6:7], -v[108:109]
	s_delay_alu instid0(VALU_DEP_1) | instskip(SKIP_1) | instid1(VALU_DEP_1)
	v_add_f64_e32 v[158:159], v[158:159], v[106:107]
	v_mul_f64_e32 v[106:107], s[14:15], v[0:1]
	v_fma_f64 v[160:161], v[8:9], s[36:37], v[106:107]
	s_delay_alu instid0(VALU_DEP_1) | instskip(SKIP_1) | instid1(VALU_DEP_1)
	v_add_f64_e32 v[160:161], v[160:161], v[104:105]
	v_mul_f64_e32 v[104:105], s[36:37], v[2:3]
	v_fma_f64 v[162:163], v[6:7], s[14:15], -v[104:105]
	s_delay_alu instid0(VALU_DEP_1) | instskip(SKIP_1) | instid1(VALU_DEP_1)
	v_add_f64_e32 v[158:159], v[162:163], v[158:159]
	v_mad_co_u64_u32 v[162:163], null, s16, v24, 0
	v_mad_co_u64_u32 v[168:169], null, s17, v24, v[163:164]
	s_delay_alu instid0(VALU_DEP_1) | instskip(NEXT) | instid1(VALU_DEP_1)
	v_dual_mov_b32 v163, v168 :: v_dual_add_nc_u32 v24, 0x154, v196
	v_lshlrev_b64_e32 v[162:163], 4, v[162:163]
	s_delay_alu instid0(VALU_DEP_1) | instskip(SKIP_1) | instid1(VALU_DEP_2)
	v_add_co_u32 v162, vcc_lo, v197, v162
	s_wait_alu 0xfffd
	v_add_co_ci_u32_e32 v163, vcc_lo, v198, v163, vcc_lo
	global_store_b128 v[162:163], v[158:161], off
	v_mul_f64_e32 v[158:159], s[6:7], v[178:179]
	s_delay_alu instid0(VALU_DEP_1) | instskip(NEXT) | instid1(VALU_DEP_1)
	v_fma_f64 v[160:161], v[60:61], s[48:49], v[158:159]
	v_add_f64_e32 v[162:163], v[4:5], v[160:161]
	v_mul_f64_e32 v[160:161], s[20:21], v[164:165]
	s_delay_alu instid0(VALU_DEP_1) | instskip(NEXT) | instid1(VALU_DEP_1)
	v_fma_f64 v[168:169], v[40:41], s[38:39], v[160:161]
	v_add_f64_e32 v[172:173], v[168:169], v[162:163]
	v_mul_f64_e32 v[162:163], s[48:49], v[166:167]
	v_mul_f64_e32 v[166:167], s[38:39], v[166:167]
	s_delay_alu instid0(VALU_DEP_2) | instskip(NEXT) | instid1(VALU_DEP_1)
	v_fma_f64 v[168:169], v[56:57], s[6:7], -v[162:163]
	v_add_f64_e32 v[168:169], v[130:131], v[168:169]
	s_delay_alu instid0(VALU_DEP_1) | instskip(SKIP_1) | instid1(VALU_DEP_1)
	v_add_f64_e32 v[174:175], v[174:175], v[168:169]
	v_mul_f64_e32 v[168:169], s[18:19], v[154:155]
	v_fma_f64 v[176:177], v[30:31], s[34:35], v[168:169]
	s_delay_alu instid0(VALU_DEP_1) | instskip(SKIP_1) | instid1(VALU_DEP_1)
	v_add_f64_e32 v[176:177], v[176:177], v[172:173]
	v_mul_f64_e32 v[172:173], s[34:35], v[152:153]
	v_fma_f64 v[180:181], v[28:29], s[18:19], -v[172:173]
	s_delay_alu instid0(VALU_DEP_1) | instskip(SKIP_1) | instid1(VALU_DEP_1)
	v_add_f64_e32 v[180:181], v[180:181], v[174:175]
	v_mul_f64_e32 v[174:175], s[0:1], v[150:151]
	v_fma_f64 v[182:183], v[26:27], s[40:41], v[174:175]
	s_delay_alu instid0(VALU_DEP_1) | instskip(SKIP_1) | instid1(VALU_DEP_1)
	v_add_f64_e32 v[182:183], v[182:183], v[176:177]
	v_mul_f64_e32 v[176:177], s[40:41], v[148:149]
	v_fma_f64 v[184:185], v[22:23], s[0:1], -v[176:177]
	;; [unrolled: 8-line block ×6, first 2 shown]
	s_delay_alu instid0(VALU_DEP_1) | instskip(SKIP_1) | instid1(VALU_DEP_1)
	v_add_f64_e32 v[199:200], v[203:204], v[199:200]
	v_mad_co_u64_u32 v[203:204], null, s16, v24, 0
	v_mad_co_u64_u32 v[204:205], null, s17, v24, v[204:205]
	v_mul_f64_e32 v[205:206], s[14:15], v[164:165]
	v_add_nc_u32_e32 v24, 0x1a9, v196
	s_delay_alu instid0(VALU_DEP_3) | instskip(NEXT) | instid1(VALU_DEP_1)
	v_lshlrev_b64_e32 v[203:204], 4, v[203:204]
	v_add_co_u32 v203, vcc_lo, v197, v203
	s_wait_alu 0xfffd
	s_delay_alu instid0(VALU_DEP_2) | instskip(SKIP_3) | instid1(VALU_DEP_2)
	v_add_co_ci_u32_e32 v204, vcc_lo, v198, v204, vcc_lo
	global_store_b128 v[203:204], v[199:202], off
	v_mul_f64_e32 v[203:204], s[18:19], v[178:179]
	v_fma_f64 v[201:202], v[40:41], s[22:23], v[205:206]
	v_fma_f64 v[199:200], v[60:61], s[26:27], v[203:204]
	s_delay_alu instid0(VALU_DEP_1) | instskip(NEXT) | instid1(VALU_DEP_1)
	v_add_f64_e32 v[199:200], v[4:5], v[199:200]
	v_add_f64_e32 v[199:200], v[201:202], v[199:200]
	v_fma_f64 v[201:202], v[56:57], s[18:19], -v[207:208]
	s_delay_alu instid0(VALU_DEP_1) | instskip(NEXT) | instid1(VALU_DEP_1)
	v_add_f64_e32 v[201:202], v[130:131], v[201:202]
	v_add_f64_e32 v[201:202], v[211:212], v[201:202]
	v_mul_f64_e32 v[211:212], s[10:11], v[154:155]
	s_delay_alu instid0(VALU_DEP_1) | instskip(NEXT) | instid1(VALU_DEP_1)
	v_fma_f64 v[213:214], v[30:31], s[44:45], v[211:212]
	v_add_f64_e32 v[199:200], v[213:214], v[199:200]
	v_mul_f64_e32 v[213:214], s[44:45], v[152:153]
	s_delay_alu instid0(VALU_DEP_1) | instskip(NEXT) | instid1(VALU_DEP_1)
	v_fma_f64 v[215:216], v[28:29], s[10:11], -v[213:214]
	v_add_f64_e32 v[201:202], v[215:216], v[201:202]
	v_mul_f64_e32 v[215:216], s[4:5], v[150:151]
	s_delay_alu instid0(VALU_DEP_1) | instskip(NEXT) | instid1(VALU_DEP_1)
	v_fma_f64 v[217:218], v[26:27], s[8:9], v[215:216]
	v_add_f64_e32 v[199:200], v[217:218], v[199:200]
	v_mul_f64_e32 v[217:218], s[8:9], v[148:149]
	s_delay_alu instid0(VALU_DEP_1) | instskip(NEXT) | instid1(VALU_DEP_1)
	v_fma_f64 v[219:220], v[22:23], s[4:5], -v[217:218]
	;; [unrolled: 8-line block ×3, first 2 shown]
	v_add_f64_e32 v[201:202], v[223:224], v[201:202]
	v_mul_f64_e32 v[223:224], s[6:7], v[142:143]
	v_mul_f64_e32 v[142:143], s[4:5], v[142:143]
	s_delay_alu instid0(VALU_DEP_2) | instskip(NEXT) | instid1(VALU_DEP_1)
	v_fma_f64 v[225:226], v[18:19], s[50:51], v[223:224]
	v_add_f64_e32 v[199:200], v[225:226], v[199:200]
	v_mul_f64_e32 v[225:226], s[50:51], v[140:141]
	v_mul_f64_e32 v[140:141], s[42:43], v[140:141]
	s_delay_alu instid0(VALU_DEP_2) | instskip(NEXT) | instid1(VALU_DEP_1)
	v_fma_f64 v[227:228], v[12:13], s[6:7], -v[225:226]
	v_add_f64_e32 v[201:202], v[227:228], v[201:202]
	v_mul_f64_e32 v[227:228], s[0:1], v[138:139]
	v_mul_f64_e32 v[138:139], s[18:19], v[138:139]
	s_delay_alu instid0(VALU_DEP_2) | instskip(NEXT) | instid1(VALU_DEP_1)
	v_fma_f64 v[229:230], v[14:15], s[2:3], v[227:228]
	v_add_f64_e32 v[199:200], v[229:230], v[199:200]
	v_mul_f64_e32 v[229:230], s[2:3], v[136:137]
	v_mul_f64_e32 v[136:137], s[26:27], v[136:137]
	s_delay_alu instid0(VALU_DEP_2) | instskip(NEXT) | instid1(VALU_DEP_1)
	v_fma_f64 v[231:232], v[10:11], s[0:1], -v[229:230]
	v_add_f64_e32 v[231:232], v[231:232], v[201:202]
	v_fma_f64 v[201:202], v[8:9], s[46:47], v[233:234]
	s_delay_alu instid0(VALU_DEP_1) | instskip(SKIP_1) | instid1(VALU_DEP_1)
	v_add_f64_e32 v[201:202], v[201:202], v[199:200]
	v_fma_f64 v[199:200], v[6:7], s[24:25], -v[235:236]
	v_add_f64_e32 v[199:200], v[199:200], v[231:232]
	v_mad_co_u64_u32 v[231:232], null, s16, v24, 0
	s_delay_alu instid0(VALU_DEP_1) | instskip(SKIP_1) | instid1(VALU_DEP_2)
	v_mad_co_u64_u32 v[237:238], null, s17, v24, v[232:233]
	v_add_nc_u32_e32 v24, 0x1fe, v196
	v_mov_b32_e32 v232, v237
	v_mul_f64_e32 v[237:238], s[18:19], v[164:165]
	s_delay_alu instid0(VALU_DEP_2) | instskip(NEXT) | instid1(VALU_DEP_1)
	v_lshlrev_b64_e32 v[231:232], 4, v[231:232]
	v_add_co_u32 v231, vcc_lo, v197, v231
	s_wait_alu 0xfffd
	s_delay_alu instid0(VALU_DEP_2) | instskip(SKIP_3) | instid1(VALU_DEP_2)
	v_add_co_ci_u32_e32 v232, vcc_lo, v198, v232, vcc_lo
	global_store_b128 v[231:232], v[199:202], off
	v_mul_f64_e32 v[231:232], s[24:25], v[178:179]
	v_fma_f64 v[201:202], v[40:41], s[34:35], v[237:238]
	v_fma_f64 v[199:200], v[60:61], s[46:47], v[231:232]
	s_delay_alu instid0(VALU_DEP_1) | instskip(NEXT) | instid1(VALU_DEP_1)
	v_add_f64_e32 v[199:200], v[4:5], v[199:200]
	v_add_f64_e32 v[199:200], v[201:202], v[199:200]
	v_fma_f64 v[201:202], v[56:57], s[24:25], -v[239:240]
	s_delay_alu instid0(VALU_DEP_1) | instskip(NEXT) | instid1(VALU_DEP_1)
	v_add_f64_e32 v[201:202], v[130:131], v[201:202]
	v_add_f64_e32 v[201:202], v[243:244], v[201:202]
	v_mul_f64_e32 v[243:244], s[0:1], v[154:155]
	v_mul_f64_e32 v[154:155], s[14:15], v[154:155]
	s_delay_alu instid0(VALU_DEP_2) | instskip(NEXT) | instid1(VALU_DEP_1)
	v_fma_f64 v[245:246], v[30:31], s[2:3], v[243:244]
	v_add_f64_e32 v[199:200], v[245:246], v[199:200]
	v_mul_f64_e32 v[245:246], s[2:3], v[152:153]
	v_mul_f64_e32 v[152:153], s[36:37], v[152:153]
	s_delay_alu instid0(VALU_DEP_2) | instskip(NEXT) | instid1(VALU_DEP_1)
	v_fma_f64 v[247:248], v[28:29], s[0:1], -v[245:246]
	v_add_f64_e32 v[201:202], v[247:248], v[201:202]
	v_mul_f64_e32 v[247:248], s[14:15], v[150:151]
	v_mul_f64_e32 v[150:151], s[10:11], v[150:151]
	s_delay_alu instid0(VALU_DEP_2) | instskip(NEXT) | instid1(VALU_DEP_1)
	v_fma_f64 v[249:250], v[26:27], s[36:37], v[247:248]
	v_add_f64_e32 v[199:200], v[249:250], v[199:200]
	v_mul_f64_e32 v[249:250], s[36:37], v[148:149]
	v_mul_f64_e32 v[148:149], s[44:45], v[148:149]
	s_delay_alu instid0(VALU_DEP_2) | instskip(NEXT) | instid1(VALU_DEP_1)
	v_fma_f64 v[251:252], v[22:23], s[14:15], -v[249:250]
	;; [unrolled: 10-line block ×3, first 2 shown]
	v_add_f64_e32 v[32:33], v[32:33], v[201:202]
	v_fma_f64 v[201:202], v[18:19], s[12:13], v[48:49]
	s_delay_alu instid0(VALU_DEP_1) | instskip(SKIP_1) | instid1(VALU_DEP_1)
	v_add_f64_e32 v[199:200], v[201:202], v[199:200]
	v_fma_f64 v[201:202], v[12:13], s[10:11], -v[46:47]
	v_add_f64_e32 v[32:33], v[201:202], v[32:33]
	v_fma_f64 v[201:202], v[14:15], s[38:39], v[44:45]
	s_delay_alu instid0(VALU_DEP_1) | instskip(SKIP_1) | instid1(VALU_DEP_1)
	v_add_f64_e32 v[199:200], v[201:202], v[199:200]
	v_fma_f64 v[201:202], v[10:11], s[20:21], -v[42:43]
	;; [unrolled: 5-line block ×3, first 2 shown]
	v_add_f64_e32 v[199:200], v[199:200], v[32:33]
	v_mad_co_u64_u32 v[32:33], null, s16, v24, 0
	s_delay_alu instid0(VALU_DEP_1) | instskip(SKIP_1) | instid1(VALU_DEP_2)
	v_mad_co_u64_u32 v[50:51], null, s17, v24, v[33:34]
	v_mul_f64_e32 v[24:25], s[4:5], v[164:165]
	v_mov_b32_e32 v33, v50
	s_delay_alu instid0(VALU_DEP_1) | instskip(NEXT) | instid1(VALU_DEP_1)
	v_lshlrev_b64_e32 v[32:33], 4, v[32:33]
	v_add_co_u32 v32, vcc_lo, v197, v32
	s_wait_alu 0xfffd
	s_delay_alu instid0(VALU_DEP_2) | instskip(SKIP_4) | instid1(VALU_DEP_3)
	v_add_co_ci_u32_e32 v33, vcc_lo, v198, v33, vcc_lo
	global_store_b128 v[32:33], v[199:202], off
	v_mul_f64_e32 v[32:33], s[14:15], v[178:179]
	v_fma_f64 v[201:202], v[34:35], s[4:5], -v[90:91]
	v_fma_f64 v[199:200], v[40:41], s[42:43], v[24:25]
	v_fma_f64 v[50:51], v[60:61], s[36:37], v[32:33]
	s_delay_alu instid0(VALU_DEP_1) | instskip(NEXT) | instid1(VALU_DEP_1)
	v_add_f64_e32 v[50:51], v[4:5], v[50:51]
	v_add_f64_e32 v[50:51], v[199:200], v[50:51]
	v_fma_f64 v[199:200], v[56:57], s[14:15], -v[88:89]
	s_delay_alu instid0(VALU_DEP_1) | instskip(NEXT) | instid1(VALU_DEP_1)
	v_add_f64_e32 v[199:200], v[130:131], v[199:200]
	v_add_f64_e32 v[199:200], v[201:202], v[199:200]
	v_fma_f64 v[201:202], v[30:31], s[48:49], v[96:97]
	s_delay_alu instid0(VALU_DEP_1) | instskip(SKIP_1) | instid1(VALU_DEP_1)
	v_add_f64_e32 v[50:51], v[201:202], v[50:51]
	v_fma_f64 v[201:202], v[28:29], s[6:7], -v[98:99]
	v_add_f64_e32 v[199:200], v[201:202], v[199:200]
	v_fma_f64 v[201:202], v[26:27], s[30:31], v[100:101]
	s_delay_alu instid0(VALU_DEP_1) | instskip(SKIP_1) | instid1(VALU_DEP_1)
	v_add_f64_e32 v[50:51], v[201:202], v[50:51]
	v_fma_f64 v[201:202], v[22:23], s[24:25], -v[102:103]
	;; [unrolled: 5-line block ×5, first 2 shown]
	v_add_f64_e32 v[199:200], v[201:202], v[199:200]
	v_fma_f64 v[201:202], v[8:9], s[26:27], v[128:129]
	s_delay_alu instid0(VALU_DEP_1) | instskip(SKIP_1) | instid1(VALU_DEP_1)
	v_add_f64_e32 v[201:202], v[201:202], v[50:51]
	v_mul_f64_e32 v[50:51], s[26:27], v[2:3]
	v_fma_f64 v[72:73], v[6:7], s[18:19], -v[50:51]
	s_delay_alu instid0(VALU_DEP_1) | instskip(SKIP_1) | instid1(VALU_DEP_1)
	v_add_f64_e32 v[199:200], v[72:73], v[199:200]
	v_mad_co_u64_u32 v[72:73], null, s16, v74, 0
	v_mad_co_u64_u32 v[73:74], null, s17, v74, v[73:74]
	v_mul_f64_e32 v[74:75], s[0:1], v[164:165]
	s_delay_alu instid0(VALU_DEP_2) | instskip(NEXT) | instid1(VALU_DEP_1)
	v_lshlrev_b64_e32 v[72:73], 4, v[72:73]
	v_add_co_u32 v72, vcc_lo, v197, v72
	s_wait_alu 0xfffd
	s_delay_alu instid0(VALU_DEP_2)
	v_add_co_ci_u32_e32 v73, vcc_lo, v198, v73, vcc_lo
	global_store_b128 v[72:73], v[199:202], off
	v_mul_f64_e32 v[72:73], s[20:21], v[178:179]
	v_fma_f64 v[199:200], v[34:35], s[0:1], -v[156:157]
	v_mul_f64_e32 v[201:202], s[50:51], v[2:3]
	v_fma_f64 v[178:179], v[40:41], s[40:41], v[74:75]
	s_delay_alu instid0(VALU_DEP_4) | instskip(NEXT) | instid1(VALU_DEP_1)
	v_fma_f64 v[164:165], v[60:61], s[38:39], v[72:73]
	v_add_f64_e32 v[164:165], v[4:5], v[164:165]
	s_delay_alu instid0(VALU_DEP_1) | instskip(SKIP_1) | instid1(VALU_DEP_1)
	v_add_f64_e32 v[164:165], v[178:179], v[164:165]
	v_fma_f64 v[178:179], v[56:57], s[20:21], -v[166:167]
	v_add_f64_e32 v[178:179], v[130:131], v[178:179]
	s_delay_alu instid0(VALU_DEP_1) | instskip(SKIP_1) | instid1(VALU_DEP_1)
	v_add_f64_e32 v[178:179], v[199:200], v[178:179]
	v_fma_f64 v[199:200], v[30:31], s[36:37], v[154:155]
	v_add_f64_e32 v[164:165], v[199:200], v[164:165]
	v_fma_f64 v[199:200], v[28:29], s[14:15], -v[152:153]
	s_delay_alu instid0(VALU_DEP_1) | instskip(SKIP_1) | instid1(VALU_DEP_1)
	v_add_f64_e32 v[178:179], v[199:200], v[178:179]
	v_fma_f64 v[199:200], v[26:27], s[44:45], v[150:151]
	v_add_f64_e32 v[164:165], v[199:200], v[164:165]
	v_fma_f64 v[199:200], v[22:23], s[10:11], -v[148:149]
	;; [unrolled: 5-line block ×5, first 2 shown]
	s_delay_alu instid0(VALU_DEP_1) | instskip(SKIP_1) | instid1(VALU_DEP_1)
	v_add_f64_e32 v[178:179], v[199:200], v[178:179]
	v_mul_f64_e32 v[199:200], s[6:7], v[0:1]
	v_fma_f64 v[0:1], v[8:9], s[50:51], v[199:200]
	s_delay_alu instid0(VALU_DEP_1) | instskip(SKIP_1) | instid1(VALU_DEP_1)
	v_add_f64_e32 v[2:3], v[0:1], v[164:165]
	v_fma_f64 v[0:1], v[6:7], s[6:7], -v[201:202]
	v_add_f64_e32 v[0:1], v[0:1], v[178:179]
	v_add_nc_u32_e32 v178, 0x2a8, v196
	s_delay_alu instid0(VALU_DEP_1) | instskip(NEXT) | instid1(VALU_DEP_1)
	v_mad_co_u64_u32 v[164:165], null, s16, v178, 0
	v_mad_co_u64_u32 v[178:179], null, s17, v178, v[165:166]
	s_delay_alu instid0(VALU_DEP_1) | instskip(NEXT) | instid1(VALU_DEP_1)
	v_mov_b32_e32 v165, v178
	v_lshlrev_b64_e32 v[164:165], 4, v[164:165]
	s_delay_alu instid0(VALU_DEP_1) | instskip(SKIP_1) | instid1(VALU_DEP_2)
	v_add_co_u32 v164, vcc_lo, v197, v164
	s_wait_alu 0xfffd
	v_add_co_ci_u32_e32 v165, vcc_lo, v198, v165, vcc_lo
	global_store_b128 v[164:165], v[0:3], off
	v_fma_f64 v[0:1], v[60:61], s[28:29], v[72:73]
	v_fma_f64 v[2:3], v[40:41], s[2:3], v[74:75]
	;; [unrolled: 1-line block ×4, first 2 shown]
	s_delay_alu instid0(VALU_DEP_4) | instskip(NEXT) | instid1(VALU_DEP_1)
	v_add_f64_e32 v[0:1], v[4:5], v[0:1]
	v_add_f64_e32 v[0:1], v[2:3], v[0:1]
	v_fma_f64 v[2:3], v[56:57], s[20:21], v[166:167]
	s_delay_alu instid0(VALU_DEP_1) | instskip(NEXT) | instid1(VALU_DEP_1)
	v_add_f64_e32 v[2:3], v[130:131], v[2:3]
	v_add_f64_e32 v[2:3], v[72:73], v[2:3]
	v_fma_f64 v[72:73], v[30:31], s[22:23], v[154:155]
	s_delay_alu instid0(VALU_DEP_1) | instskip(SKIP_1) | instid1(VALU_DEP_1)
	v_add_f64_e32 v[0:1], v[72:73], v[0:1]
	v_fma_f64 v[72:73], v[28:29], s[14:15], v[152:153]
	v_add_f64_e32 v[2:3], v[72:73], v[2:3]
	v_fma_f64 v[72:73], v[26:27], s[12:13], v[150:151]
	s_delay_alu instid0(VALU_DEP_1) | instskip(SKIP_1) | instid1(VALU_DEP_1)
	v_add_f64_e32 v[0:1], v[72:73], v[0:1]
	v_fma_f64 v[72:73], v[22:23], s[10:11], v[148:149]
	;; [unrolled: 5-line block ×5, first 2 shown]
	v_add_f64_e32 v[72:73], v[72:73], v[2:3]
	v_fma_f64 v[2:3], v[8:9], s[48:49], v[199:200]
	s_delay_alu instid0(VALU_DEP_1) | instskip(NEXT) | instid1(VALU_DEP_3)
	v_add_f64_e32 v[2:3], v[2:3], v[0:1]
	v_add_f64_e32 v[0:1], v[74:75], v[72:73]
	v_add_nc_u32_e32 v74, 0x2fd, v196
	s_delay_alu instid0(VALU_DEP_1) | instskip(NEXT) | instid1(VALU_DEP_1)
	v_mad_co_u64_u32 v[72:73], null, s16, v74, 0
	v_mad_co_u64_u32 v[73:74], null, s17, v74, v[73:74]
	s_delay_alu instid0(VALU_DEP_1) | instskip(NEXT) | instid1(VALU_DEP_1)
	v_lshlrev_b64_e32 v[72:73], 4, v[72:73]
	v_add_co_u32 v72, vcc_lo, v197, v72
	s_wait_alu 0xfffd
	s_delay_alu instid0(VALU_DEP_2)
	v_add_co_ci_u32_e32 v73, vcc_lo, v198, v73, vcc_lo
	global_store_b128 v[72:73], v[0:3], off
	v_fma_f64 v[0:1], v[60:61], s[22:23], v[32:33]
	v_fma_f64 v[2:3], v[40:41], s[8:9], v[24:25]
	;; [unrolled: 1-line block ×4, first 2 shown]
	scratch_load_b64 v[50:51], off, off offset:88 th:TH_LOAD_LU ; 8-byte Folded Reload
	v_add_f64_e32 v[0:1], v[4:5], v[0:1]
	s_delay_alu instid0(VALU_DEP_1) | instskip(SKIP_1) | instid1(VALU_DEP_1)
	v_add_f64_e32 v[0:1], v[2:3], v[0:1]
	v_fma_f64 v[2:3], v[56:57], s[14:15], v[88:89]
	v_add_f64_e32 v[2:3], v[130:131], v[2:3]
	s_delay_alu instid0(VALU_DEP_1) | instskip(SKIP_1) | instid1(VALU_DEP_1)
	v_add_f64_e32 v[2:3], v[24:25], v[2:3]
	v_fma_f64 v[24:25], v[30:31], s[50:51], v[96:97]
	v_add_f64_e32 v[0:1], v[24:25], v[0:1]
	v_fma_f64 v[24:25], v[28:29], s[6:7], v[98:99]
	s_delay_alu instid0(VALU_DEP_1) | instskip(SKIP_1) | instid1(VALU_DEP_1)
	v_add_f64_e32 v[2:3], v[24:25], v[2:3]
	v_fma_f64 v[24:25], v[26:27], s[46:47], v[100:101]
	v_add_f64_e32 v[0:1], v[24:25], v[0:1]
	v_fma_f64 v[24:25], v[22:23], s[24:25], v[102:103]
	;; [unrolled: 5-line block ×5, first 2 shown]
	s_delay_alu instid0(VALU_DEP_1) | instskip(SKIP_1) | instid1(VALU_DEP_1)
	v_add_f64_e32 v[24:25], v[24:25], v[2:3]
	v_fma_f64 v[2:3], v[8:9], s[34:35], v[128:129]
	v_add_f64_e32 v[2:3], v[2:3], v[0:1]
	s_delay_alu instid0(VALU_DEP_3) | instskip(SKIP_1) | instid1(VALU_DEP_1)
	v_add_f64_e32 v[0:1], v[32:33], v[24:25]
	v_add_nc_u32_e32 v32, 0x352, v196
	v_mad_co_u64_u32 v[24:25], null, s16, v32, 0
	s_delay_alu instid0(VALU_DEP_1) | instskip(NEXT) | instid1(VALU_DEP_1)
	v_mad_co_u64_u32 v[32:33], null, s17, v32, v[25:26]
	v_mov_b32_e32 v25, v32
	v_fma_f64 v[32:33], v[6:7], s[4:5], v[36:37]
	v_fma_f64 v[36:37], v[34:35], s[20:21], v[170:171]
	s_delay_alu instid0(VALU_DEP_3) | instskip(NEXT) | instid1(VALU_DEP_1)
	v_lshlrev_b64_e32 v[24:25], 4, v[24:25]
	v_add_co_u32 v24, vcc_lo, v197, v24
	s_wait_alu 0xfffd
	s_delay_alu instid0(VALU_DEP_2) | instskip(SKIP_4) | instid1(VALU_DEP_3)
	v_add_co_ci_u32_e32 v25, vcc_lo, v198, v25, vcc_lo
	global_store_b128 v[24:25], v[0:3], off
	v_fma_f64 v[0:1], v[60:61], s[30:31], v[231:232]
	v_fma_f64 v[2:3], v[40:41], s[26:27], v[237:238]
	;; [unrolled: 1-line block ×3, first 2 shown]
	v_add_f64_e32 v[0:1], v[4:5], v[0:1]
	s_delay_alu instid0(VALU_DEP_1) | instskip(SKIP_1) | instid1(VALU_DEP_1)
	v_add_f64_e32 v[0:1], v[2:3], v[0:1]
	v_fma_f64 v[2:3], v[56:57], s[24:25], v[239:240]
	v_add_f64_e32 v[2:3], v[130:131], v[2:3]
	s_delay_alu instid0(VALU_DEP_1) | instskip(SKIP_1) | instid1(VALU_DEP_1)
	v_add_f64_e32 v[2:3], v[24:25], v[2:3]
	v_fma_f64 v[24:25], v[30:31], s[40:41], v[243:244]
	v_add_f64_e32 v[0:1], v[24:25], v[0:1]
	v_fma_f64 v[24:25], v[28:29], s[0:1], v[245:246]
	s_delay_alu instid0(VALU_DEP_1) | instskip(SKIP_1) | instid1(VALU_DEP_1)
	v_add_f64_e32 v[2:3], v[24:25], v[2:3]
	v_fma_f64 v[24:25], v[26:27], s[22:23], v[247:248]
	v_add_f64_e32 v[0:1], v[24:25], v[0:1]
	v_fma_f64 v[24:25], v[22:23], s[14:15], v[249:250]
	;; [unrolled: 5-line block ×3, first 2 shown]
	s_delay_alu instid0(VALU_DEP_1) | instskip(SKIP_2) | instid1(VALU_DEP_2)
	v_add_f64_e32 v[2:3], v[24:25], v[2:3]
	v_fma_f64 v[24:25], v[18:19], s[44:45], v[48:49]
	v_fma_f64 v[48:49], v[40:41], s[50:51], v[94:95]
	v_add_f64_e32 v[0:1], v[24:25], v[0:1]
	v_fma_f64 v[24:25], v[12:13], s[10:11], v[46:47]
	v_fma_f64 v[46:47], v[40:41], s[30:31], v[58:59]
	scratch_load_b64 v[58:59], off, off offset:104 th:TH_LOAD_LU ; 8-byte Folded Reload
	v_add_f64_e32 v[2:3], v[24:25], v[2:3]
	v_fma_f64 v[24:25], v[14:15], s[28:29], v[44:45]
	scratch_load_b64 v[44:45], off, off offset:120 th:TH_LOAD_LU ; 8-byte Folded Reload
	v_add_f64_e32 v[0:1], v[24:25], v[0:1]
	v_fma_f64 v[24:25], v[10:11], s[20:21], v[42:43]
	v_fma_f64 v[42:43], v[56:57], s[10:11], v[80:81]
	s_delay_alu instid0(VALU_DEP_2) | instskip(SKIP_2) | instid1(VALU_DEP_2)
	v_add_f64_e32 v[24:25], v[24:25], v[2:3]
	v_fma_f64 v[2:3], v[8:9], s[8:9], v[38:39]
	v_fma_f64 v[38:39], v[6:7], s[10:11], v[194:195]
	v_add_f64_e32 v[2:3], v[2:3], v[0:1]
	s_delay_alu instid0(VALU_DEP_4) | instskip(SKIP_1) | instid1(VALU_DEP_1)
	v_add_f64_e32 v[0:1], v[32:33], v[24:25]
	v_add_nc_u32_e32 v32, 0x3a7, v196
	v_mad_co_u64_u32 v[24:25], null, s16, v32, 0
	s_delay_alu instid0(VALU_DEP_1) | instskip(NEXT) | instid1(VALU_DEP_1)
	v_mad_co_u64_u32 v[32:33], null, s17, v32, v[25:26]
	v_mov_b32_e32 v25, v32
	v_fma_f64 v[32:33], v[6:7], s[24:25], v[235:236]
	s_delay_alu instid0(VALU_DEP_2) | instskip(NEXT) | instid1(VALU_DEP_1)
	v_lshlrev_b64_e32 v[24:25], 4, v[24:25]
	v_add_co_u32 v24, vcc_lo, v197, v24
	s_wait_alu 0xfffd
	s_delay_alu instid0(VALU_DEP_2) | instskip(SKIP_4) | instid1(VALU_DEP_3)
	v_add_co_ci_u32_e32 v25, vcc_lo, v198, v25, vcc_lo
	global_store_b128 v[24:25], v[0:3], off
	v_fma_f64 v[0:1], v[60:61], s[34:35], v[203:204]
	v_fma_f64 v[2:3], v[40:41], s[36:37], v[205:206]
	v_fma_f64 v[24:25], v[34:35], s[14:15], v[209:210]
	v_add_f64_e32 v[0:1], v[4:5], v[0:1]
	s_delay_alu instid0(VALU_DEP_1) | instskip(SKIP_1) | instid1(VALU_DEP_1)
	v_add_f64_e32 v[0:1], v[2:3], v[0:1]
	v_fma_f64 v[2:3], v[56:57], s[18:19], v[207:208]
	v_add_f64_e32 v[2:3], v[130:131], v[2:3]
	s_delay_alu instid0(VALU_DEP_1) | instskip(SKIP_3) | instid1(VALU_DEP_2)
	v_add_f64_e32 v[2:3], v[24:25], v[2:3]
	v_fma_f64 v[24:25], v[30:31], s[12:13], v[211:212]
	s_wait_loadcnt 0x0
	v_fma_f64 v[44:45], v[56:57], s[0:1], v[44:45]
	v_add_f64_e32 v[0:1], v[24:25], v[0:1]
	v_fma_f64 v[24:25], v[28:29], s[10:11], v[213:214]
	s_delay_alu instid0(VALU_DEP_1) | instskip(SKIP_1) | instid1(VALU_DEP_1)
	v_add_f64_e32 v[2:3], v[24:25], v[2:3]
	v_fma_f64 v[24:25], v[26:27], s[42:43], v[215:216]
	v_add_f64_e32 v[0:1], v[24:25], v[0:1]
	v_fma_f64 v[24:25], v[22:23], s[4:5], v[217:218]
	s_delay_alu instid0(VALU_DEP_1) | instskip(SKIP_1) | instid1(VALU_DEP_1)
	v_add_f64_e32 v[2:3], v[24:25], v[2:3]
	;; [unrolled: 5-line block ×5, first 2 shown]
	v_fma_f64 v[2:3], v[8:9], s[30:31], v[233:234]
	v_add_f64_e32 v[2:3], v[2:3], v[0:1]
	s_delay_alu instid0(VALU_DEP_3) | instskip(SKIP_2) | instid1(VALU_DEP_2)
	v_add_f64_e32 v[0:1], v[32:33], v[24:25]
	v_fma_f64 v[24:25], v[60:61], s[50:51], v[158:159]
	v_fma_f64 v[32:33], v[40:41], s[28:29], v[160:161]
	v_add_f64_e32 v[24:25], v[4:5], v[24:25]
	s_delay_alu instid0(VALU_DEP_1) | instskip(SKIP_1) | instid1(VALU_DEP_1)
	v_add_f64_e32 v[24:25], v[32:33], v[24:25]
	v_fma_f64 v[32:33], v[56:57], s[6:7], v[162:163]
	v_add_f64_e32 v[32:33], v[130:131], v[32:33]
	s_delay_alu instid0(VALU_DEP_1) | instskip(SKIP_1) | instid1(VALU_DEP_1)
	v_add_f64_e32 v[32:33], v[36:37], v[32:33]
	v_fma_f64 v[36:37], v[30:31], s[26:27], v[168:169]
	v_add_f64_e32 v[24:25], v[36:37], v[24:25]
	v_fma_f64 v[36:37], v[28:29], s[18:19], v[172:173]
	s_delay_alu instid0(VALU_DEP_1) | instskip(SKIP_1) | instid1(VALU_DEP_1)
	v_add_f64_e32 v[32:33], v[36:37], v[32:33]
	v_fma_f64 v[36:37], v[26:27], s[2:3], v[174:175]
	v_add_f64_e32 v[24:25], v[36:37], v[24:25]
	v_fma_f64 v[36:37], v[22:23], s[0:1], v[176:177]
	;; [unrolled: 5-line block ×5, first 2 shown]
	s_delay_alu instid0(VALU_DEP_1) | instskip(SKIP_1) | instid1(VALU_DEP_2)
	v_add_f64_e32 v[32:33], v[36:37], v[32:33]
	v_fma_f64 v[36:37], v[8:9], s[12:13], v[192:193]
	v_add_f64_e32 v[136:137], v[38:39], v[32:33]
	s_delay_alu instid0(VALU_DEP_2)
	v_add_f64_e32 v[138:139], v[36:37], v[24:25]
	scratch_load_b64 v[36:37], off, off offset:112 th:TH_LOAD_LU ; 8-byte Folded Reload
	v_fma_f64 v[24:25], v[60:61], s[42:43], v[134:135]
	v_fma_f64 v[32:33], v[60:61], s[44:45], v[78:79]
	;; [unrolled: 1-line block ×3, first 2 shown]
	scratch_load_b64 v[56:57], off, off offset:96 th:TH_LOAD_LU ; 8-byte Folded Reload
	v_fma_f64 v[40:41], v[40:41], s[44:45], v[50:51]
	v_fma_f64 v[50:51], v[34:35], s[24:25], v[52:53]
	;; [unrolled: 1-line block ×3, first 2 shown]
	v_add_f64_e32 v[24:25], v[4:5], v[24:25]
	v_add_f64_e32 v[32:33], v[4:5], v[32:33]
	s_delay_alu instid0(VALU_DEP_2) | instskip(NEXT) | instid1(VALU_DEP_2)
	v_add_f64_e32 v[24:25], v[46:47], v[24:25]
	v_add_f64_e32 v[32:33], v[48:49], v[32:33]
	s_clause 0x1
	scratch_load_b64 v[46:47], off, off offset:72 th:TH_LOAD_LU
	scratch_load_b64 v[48:49], off, off offset:80 th:TH_LOAD_LU
	v_add_f64_e32 v[24:25], v[54:55], v[24:25]
	s_wait_loadcnt 0x3
	v_fma_f64 v[36:37], v[60:61], s[40:41], v[36:37]
	s_wait_loadcnt 0x2
	v_fma_f64 v[34:35], v[34:35], s[10:11], v[56:57]
	v_fma_f64 v[56:57], v[30:31], s[30:31], v[84:85]
	s_delay_alu instid0(VALU_DEP_3)
	v_add_f64_e32 v[4:5], v[4:5], v[36:37]
	v_add_f64_e32 v[36:37], v[130:131], v[38:39]
	;; [unrolled: 1-line block ×4, first 2 shown]
	v_fma_f64 v[44:45], v[28:29], s[24:25], v[92:93]
	v_add_f64_e32 v[32:33], v[56:57], v[32:33]
	v_add_f64_e32 v[4:5], v[40:41], v[4:5]
	;; [unrolled: 1-line block ×3, first 2 shown]
	v_fma_f64 v[40:41], v[28:29], s[20:21], v[62:63]
	v_add_f64_e32 v[38:39], v[52:53], v[38:39]
	v_add_f64_e32 v[34:35], v[34:35], v[42:43]
	v_fma_f64 v[42:43], v[26:27], s[26:27], v[64:65]
	s_delay_alu instid0(VALU_DEP_4)
	v_add_f64_e32 v[36:37], v[40:41], v[36:37]
	scratch_load_b64 v[40:41], off, off offset:184 th:TH_LOAD_LU ; 8-byte Folded Reload
	v_add_f64_e32 v[38:39], v[44:45], v[38:39]
	scratch_load_b64 v[44:45], off, off offset:48 th:TH_LOAD_LU ; 8-byte Folded Reload
	;; [unrolled: 2-line block ×3, first 2 shown]
	s_wait_loadcnt 0x4
	v_fma_f64 v[28:29], v[28:29], s[4:5], v[46:47]
	v_fma_f64 v[46:47], v[26:27], s[28:29], v[86:87]
	s_wait_loadcnt 0x3
	v_fma_f64 v[26:27], v[26:27], s[50:51], v[48:49]
	scratch_load_b64 v[48:49], off, off offset:64 th:TH_LOAD_LU ; 8-byte Folded Reload
	v_fma_f64 v[30:31], v[30:31], s[42:43], v[58:59]
	v_add_f64_e32 v[28:29], v[28:29], v[34:35]
	v_fma_f64 v[34:35], v[20:21], s[12:13], v[66:67]
	v_add_f64_e32 v[32:33], v[46:47], v[32:33]
	s_delay_alu instid0(VALU_DEP_4) | instskip(SKIP_1) | instid1(VALU_DEP_4)
	v_add_f64_e32 v[4:5], v[30:31], v[4:5]
	v_fma_f64 v[30:31], v[22:23], s[18:19], v[118:119]
	v_add_f64_e32 v[24:25], v[34:35], v[24:25]
	scratch_load_b64 v[34:35], off, off offset:144 th:TH_LOAD_LU ; 8-byte Folded Reload
	v_add_f64_e32 v[4:5], v[26:27], v[4:5]
	v_add_f64_e32 v[30:31], v[30:31], v[36:37]
	v_fma_f64 v[26:27], v[16:17], s[10:11], v[116:117]
	s_delay_alu instid0(VALU_DEP_1)
	v_add_f64_e32 v[26:27], v[26:27], v[30:31]
	s_wait_loadcnt 0x4
	v_fma_f64 v[40:41], v[22:23], s[20:21], v[40:41]
	s_wait_loadcnt 0x3
	v_fma_f64 v[22:23], v[22:23], s[6:7], v[44:45]
	scratch_load_b64 v[44:45], off, off offset:176 th:TH_LOAD_LU ; 8-byte Folded Reload
	v_add_f64_e32 v[36:37], v[40:41], v[38:39]
	s_clause 0x1
	scratch_load_b64 v[38:39], off, off offset:168 th:TH_LOAD_LU
	scratch_load_b64 v[40:41], off, off offset:32 th:TH_LOAD_LU
	v_add_f64_e32 v[22:23], v[22:23], v[28:29]
	v_fma_f64 v[28:29], v[18:19], s[40:41], v[70:71]
	s_delay_alu instid0(VALU_DEP_1)
	v_add_f64_e32 v[24:25], v[28:29], v[24:25]
	s_wait_loadcnt 0x3
	v_fma_f64 v[34:35], v[12:13], s[18:19], v[34:35]
	s_wait_loadcnt 0x2
	v_fma_f64 v[44:45], v[20:21], s[36:37], v[44:45]
	v_fma_f64 v[20:21], v[20:21], s[34:35], v[48:49]
	s_wait_loadcnt 0x1
	v_fma_f64 v[38:39], v[16:17], s[14:15], v[38:39]
	s_delay_alu instid0(VALU_DEP_3) | instskip(NEXT) | instid1(VALU_DEP_3)
	v_add_f64_e32 v[30:31], v[44:45], v[32:33]
	v_add_f64_e32 v[4:5], v[20:21], v[4:5]
	v_fma_f64 v[20:21], v[12:13], s[0:1], v[68:69]
	s_delay_alu instid0(VALU_DEP_4)
	v_add_f64_e32 v[32:33], v[38:39], v[36:37]
	s_clause 0x1
	scratch_load_b64 v[36:37], off, off offset:16 th:TH_LOAD_LU
	scratch_load_b64 v[38:39], off, off offset:40 th:TH_LOAD_LU
	v_add_f64_e32 v[20:21], v[20:21], v[26:27]
	v_add_f64_e32 v[28:29], v[34:35], v[32:33]
	scratch_load_b64 v[34:35], off, off offset:24 th:TH_LOAD_LU ; 8-byte Folded Reload
	s_wait_loadcnt 0x3
	v_fma_f64 v[16:17], v[16:17], s[18:19], v[40:41]
	s_clause 0x1
	scratch_load_b64 v[40:41], off, off offset:160 th:TH_LOAD_LU
	scratch_load_b64 v[32:33], off, off offset:8 th:TH_LOAD_LU
	v_add_f64_e32 v[16:17], v[16:17], v[22:23]
	v_fma_f64 v[22:23], v[14:15], s[50:51], v[110:111]
	s_wait_loadcnt 0x4
	v_fma_f64 v[12:13], v[12:13], s[24:25], v[36:37]
	scratch_load_b64 v[36:37], off, off offset:152 th:TH_LOAD_LU ; 8-byte Folded Reload
	v_add_f64_e32 v[12:13], v[12:13], v[16:17]
	v_fma_f64 v[16:17], v[8:9], s[22:23], v[106:107]
	s_wait_loadcnt 0x2
	v_fma_f64 v[40:41], v[18:19], s[26:27], v[40:41]
	v_fma_f64 v[18:19], v[18:19], s[30:31], v[42:43]
	;; [unrolled: 1-line block ×3, first 2 shown]
	s_delay_alu instid0(VALU_DEP_3)
	v_add_f64_e32 v[26:27], v[40:41], v[30:31]
	scratch_load_b64 v[30:31], off, off offset:136 th:TH_LOAD_LU ; 8-byte Folded Reload
	v_add_f64_e32 v[4:5], v[18:19], v[4:5]
	v_fma_f64 v[18:19], v[10:11], s[6:7], v[108:109]
	v_add_nc_u32_e32 v40, 0x4fb, v196
	v_add_nc_u32_e32 v41, 0x550, v196
	s_delay_alu instid0(VALU_DEP_3)
	v_add_f64_e32 v[18:19], v[18:19], v[20:21]
	s_wait_loadcnt 0x1
	v_fma_f64 v[36:37], v[14:15], s[8:9], v[36:37]
	v_fma_f64 v[14:15], v[14:15], s[22:23], v[38:39]
	v_add_nc_u32_e32 v38, 0x3fc, v196
	v_add_nc_u32_e32 v39, 0x451, v196
	s_delay_alu instid0(VALU_DEP_4) | instskip(NEXT) | instid1(VALU_DEP_4)
	v_add_f64_e32 v[20:21], v[36:37], v[26:27]
	v_add_f64_e32 v[14:15], v[14:15], v[4:5]
	scratch_load_b64 v[4:5], off, off offset:128 th:TH_LOAD_LU ; 8-byte Folded Reload
	v_mad_co_u64_u32 v[26:27], null, s16, v38, 0
	v_mad_co_u64_u32 v[36:37], null, s16, v39, 0
	v_add_f64_e32 v[14:15], v[34:35], v[14:15]
	s_wait_loadcnt 0x1
	v_fma_f64 v[30:31], v[10:11], s[4:5], v[30:31]
	v_fma_f64 v[10:11], v[10:11], s[14:15], v[32:33]
	;; [unrolled: 1-line block ×3, first 2 shown]
	v_add_f64_e32 v[8:9], v[22:23], v[24:25]
	v_fma_f64 v[22:23], v[6:7], s[14:15], v[104:105]
	v_add_f64_e32 v[24:25], v[30:31], v[28:29]
	v_add_f64_e32 v[12:13], v[10:11], v[12:13]
	v_add_nc_u32_e32 v10, 0x4a6, v196
	s_wait_loadcnt 0x0
	v_fma_f64 v[28:29], v[6:7], s[0:1], v[4:5]
	scratch_load_b64 v[4:5], off, off th:TH_LOAD_LU ; 8-byte Folded Reload
	s_wait_loadcnt 0x0
	v_fma_f64 v[30:31], v[6:7], s[20:21], v[4:5]
	v_mov_b32_e32 v4, v27
	s_delay_alu instid0(VALU_DEP_1) | instskip(SKIP_1) | instid1(VALU_DEP_2)
	v_mad_co_u64_u32 v[4:5], null, s17, v38, v[4:5]
	v_mov_b32_e32 v5, v37
	v_mov_b32_e32 v27, v4
	s_delay_alu instid0(VALU_DEP_2) | instskip(SKIP_2) | instid1(VALU_DEP_4)
	v_mad_co_u64_u32 v[4:5], null, s17, v39, v[5:6]
	v_mad_co_u64_u32 v[38:39], null, s16, v10, 0
	v_add_f64_e32 v[6:7], v[16:17], v[8:9]
	v_lshlrev_b64_e32 v[26:27], 4, v[26:27]
	s_delay_alu instid0(VALU_DEP_4) | instskip(SKIP_3) | instid1(VALU_DEP_2)
	v_mov_b32_e32 v37, v4
	v_add_f64_e32 v[4:5], v[22:23], v[18:19]
	v_mov_b32_e32 v8, v39
	v_mad_co_u64_u32 v[22:23], null, s16, v41, 0
	v_mad_co_u64_u32 v[16:17], null, s17, v10, v[8:9]
	v_add_f64_e32 v[10:11], v[32:33], v[20:21]
	v_add_f64_e32 v[8:9], v[28:29], v[24:25]
	v_mad_co_u64_u32 v[17:18], null, s16, v40, 0
	v_lshlrev_b64_e32 v[19:20], 4, v[36:37]
	v_mov_b32_e32 v21, v23
	v_add_f64_e32 v[12:13], v[30:31], v[12:13]
	v_mov_b32_e32 v39, v16
	s_delay_alu instid0(VALU_DEP_4) | instskip(NEXT) | instid1(VALU_DEP_4)
	v_mad_co_u64_u32 v[23:24], null, s17, v40, v[18:19]
	v_mad_co_u64_u32 v[24:25], null, s17, v41, v[21:22]
	v_add_co_u32 v25, vcc_lo, v197, v26
	s_wait_alu 0xfffd
	v_add_co_ci_u32_e32 v26, vcc_lo, v198, v27, vcc_lo
	s_delay_alu instid0(VALU_DEP_4) | instskip(SKIP_3) | instid1(VALU_DEP_4)
	v_mov_b32_e32 v18, v23
	v_lshlrev_b64_e32 v[27:28], 4, v[38:39]
	v_mov_b32_e32 v23, v24
	v_add_co_u32 v19, vcc_lo, v197, v19
	v_lshlrev_b64_e32 v[16:17], 4, v[17:18]
	s_wait_alu 0xfffd
	v_add_co_ci_u32_e32 v20, vcc_lo, v198, v20, vcc_lo
	v_add_co_u32 v27, vcc_lo, v197, v27
	v_lshlrev_b64_e32 v[21:22], 4, v[22:23]
	s_wait_alu 0xfffd
	v_add_co_ci_u32_e32 v28, vcc_lo, v198, v28, vcc_lo
	v_add_co_u32 v16, vcc_lo, v197, v16
	s_wait_alu 0xfffd
	v_add_co_ci_u32_e32 v17, vcc_lo, v198, v17, vcc_lo
	v_add_co_u32 v21, vcc_lo, v197, v21
	s_wait_alu 0xfffd
	v_add_co_ci_u32_e32 v22, vcc_lo, v198, v22, vcc_lo
	s_clause 0x4
	global_store_b128 v[25:26], v[0:3], off
	global_store_b128 v[19:20], v[136:139], off
	;; [unrolled: 1-line block ×5, first 2 shown]
.LBB0_23:
	s_endpgm
	.section	.rodata,"a",@progbits
	.p2align	6, 0x0
	.amdhsa_kernel fft_rtc_fwd_len1445_factors_17_5_17_wgs_85_tpt_85_halfLds_dp_op_CI_CI_sbrr_dirReg
		.amdhsa_group_segment_fixed_size 0
		.amdhsa_private_segment_fixed_size 196
		.amdhsa_kernarg_size 104
		.amdhsa_user_sgpr_count 2
		.amdhsa_user_sgpr_dispatch_ptr 0
		.amdhsa_user_sgpr_queue_ptr 0
		.amdhsa_user_sgpr_kernarg_segment_ptr 1
		.amdhsa_user_sgpr_dispatch_id 0
		.amdhsa_user_sgpr_private_segment_size 0
		.amdhsa_wavefront_size32 1
		.amdhsa_uses_dynamic_stack 0
		.amdhsa_enable_private_segment 1
		.amdhsa_system_sgpr_workgroup_id_x 1
		.amdhsa_system_sgpr_workgroup_id_y 0
		.amdhsa_system_sgpr_workgroup_id_z 0
		.amdhsa_system_sgpr_workgroup_info 0
		.amdhsa_system_vgpr_workitem_id 0
		.amdhsa_next_free_vgpr 255
		.amdhsa_next_free_sgpr 60
		.amdhsa_reserve_vcc 1
		.amdhsa_float_round_mode_32 0
		.amdhsa_float_round_mode_16_64 0
		.amdhsa_float_denorm_mode_32 3
		.amdhsa_float_denorm_mode_16_64 3
		.amdhsa_fp16_overflow 0
		.amdhsa_workgroup_processor_mode 1
		.amdhsa_memory_ordered 1
		.amdhsa_forward_progress 0
		.amdhsa_round_robin_scheduling 0
		.amdhsa_exception_fp_ieee_invalid_op 0
		.amdhsa_exception_fp_denorm_src 0
		.amdhsa_exception_fp_ieee_div_zero 0
		.amdhsa_exception_fp_ieee_overflow 0
		.amdhsa_exception_fp_ieee_underflow 0
		.amdhsa_exception_fp_ieee_inexact 0
		.amdhsa_exception_int_div_zero 0
	.end_amdhsa_kernel
	.text
.Lfunc_end0:
	.size	fft_rtc_fwd_len1445_factors_17_5_17_wgs_85_tpt_85_halfLds_dp_op_CI_CI_sbrr_dirReg, .Lfunc_end0-fft_rtc_fwd_len1445_factors_17_5_17_wgs_85_tpt_85_halfLds_dp_op_CI_CI_sbrr_dirReg
                                        ; -- End function
	.section	.AMDGPU.csdata,"",@progbits
; Kernel info:
; codeLenInByte = 18600
; NumSgprs: 62
; NumVgprs: 255
; ScratchSize: 196
; MemoryBound: 1
; FloatMode: 240
; IeeeMode: 1
; LDSByteSize: 0 bytes/workgroup (compile time only)
; SGPRBlocks: 7
; VGPRBlocks: 31
; NumSGPRsForWavesPerEU: 62
; NumVGPRsForWavesPerEU: 255
; Occupancy: 5
; WaveLimiterHint : 1
; COMPUTE_PGM_RSRC2:SCRATCH_EN: 1
; COMPUTE_PGM_RSRC2:USER_SGPR: 2
; COMPUTE_PGM_RSRC2:TRAP_HANDLER: 0
; COMPUTE_PGM_RSRC2:TGID_X_EN: 1
; COMPUTE_PGM_RSRC2:TGID_Y_EN: 0
; COMPUTE_PGM_RSRC2:TGID_Z_EN: 0
; COMPUTE_PGM_RSRC2:TIDIG_COMP_CNT: 0
	.text
	.p2alignl 7, 3214868480
	.fill 96, 4, 3214868480
	.type	__hip_cuid_e2a1db8e8d11ac60,@object ; @__hip_cuid_e2a1db8e8d11ac60
	.section	.bss,"aw",@nobits
	.globl	__hip_cuid_e2a1db8e8d11ac60
__hip_cuid_e2a1db8e8d11ac60:
	.byte	0                               ; 0x0
	.size	__hip_cuid_e2a1db8e8d11ac60, 1

	.ident	"AMD clang version 19.0.0git (https://github.com/RadeonOpenCompute/llvm-project roc-6.4.0 25133 c7fe45cf4b819c5991fe208aaa96edf142730f1d)"
	.section	".note.GNU-stack","",@progbits
	.addrsig
	.addrsig_sym __hip_cuid_e2a1db8e8d11ac60
	.amdgpu_metadata
---
amdhsa.kernels:
  - .args:
      - .actual_access:  read_only
        .address_space:  global
        .offset:         0
        .size:           8
        .value_kind:     global_buffer
      - .offset:         8
        .size:           8
        .value_kind:     by_value
      - .actual_access:  read_only
        .address_space:  global
        .offset:         16
        .size:           8
        .value_kind:     global_buffer
      - .actual_access:  read_only
        .address_space:  global
        .offset:         24
        .size:           8
        .value_kind:     global_buffer
      - .actual_access:  read_only
        .address_space:  global
        .offset:         32
        .size:           8
        .value_kind:     global_buffer
      - .offset:         40
        .size:           8
        .value_kind:     by_value
      - .actual_access:  read_only
        .address_space:  global
        .offset:         48
        .size:           8
        .value_kind:     global_buffer
      - .actual_access:  read_only
        .address_space:  global
        .offset:         56
        .size:           8
        .value_kind:     global_buffer
      - .offset:         64
        .size:           4
        .value_kind:     by_value
      - .actual_access:  read_only
        .address_space:  global
        .offset:         72
        .size:           8
        .value_kind:     global_buffer
      - .actual_access:  read_only
        .address_space:  global
        .offset:         80
        .size:           8
        .value_kind:     global_buffer
      - .actual_access:  read_only
        .address_space:  global
        .offset:         88
        .size:           8
        .value_kind:     global_buffer
      - .actual_access:  write_only
        .address_space:  global
        .offset:         96
        .size:           8
        .value_kind:     global_buffer
    .group_segment_fixed_size: 0
    .kernarg_segment_align: 8
    .kernarg_segment_size: 104
    .language:       OpenCL C
    .language_version:
      - 2
      - 0
    .max_flat_workgroup_size: 85
    .name:           fft_rtc_fwd_len1445_factors_17_5_17_wgs_85_tpt_85_halfLds_dp_op_CI_CI_sbrr_dirReg
    .private_segment_fixed_size: 196
    .sgpr_count:     62
    .sgpr_spill_count: 0
    .symbol:         fft_rtc_fwd_len1445_factors_17_5_17_wgs_85_tpt_85_halfLds_dp_op_CI_CI_sbrr_dirReg.kd
    .uniform_work_group_size: 1
    .uses_dynamic_stack: false
    .vgpr_count:     255
    .vgpr_spill_count: 48
    .wavefront_size: 32
    .workgroup_processor_mode: 1
amdhsa.target:   amdgcn-amd-amdhsa--gfx1201
amdhsa.version:
  - 1
  - 2
...

	.end_amdgpu_metadata
